;; amdgpu-corpus repo=ROCm/rocFFT kind=compiled arch=gfx1201 opt=O3
	.text
	.amdgcn_target "amdgcn-amd-amdhsa--gfx1201"
	.amdhsa_code_object_version 6
	.protected	bluestein_single_back_len1000_dim1_half_op_CI_CI ; -- Begin function bluestein_single_back_len1000_dim1_half_op_CI_CI
	.globl	bluestein_single_back_len1000_dim1_half_op_CI_CI
	.p2align	8
	.type	bluestein_single_back_len1000_dim1_half_op_CI_CI,@function
bluestein_single_back_len1000_dim1_half_op_CI_CI: ; @bluestein_single_back_len1000_dim1_half_op_CI_CI
; %bb.0:
	s_load_b128 s[12:15], s[0:1], 0x28
	v_mul_u32_u24_e32 v1, 0x290, v0
	s_mov_b32 s2, exec_lo
	v_mov_b32_e32 v17, 0
	s_delay_alu instid0(VALU_DEP_2) | instskip(NEXT) | instid1(VALU_DEP_1)
	v_lshrrev_b32_e32 v1, 16, v1
	v_add_nc_u32_e32 v16, ttmp9, v1
	s_wait_kmcnt 0x0
	s_delay_alu instid0(VALU_DEP_1)
	v_cmpx_gt_u64_e64 s[12:13], v[16:17]
	s_cbranch_execz .LBB0_2
; %bb.1:
	s_clause 0x1
	s_load_b128 s[4:7], s[0:1], 0x18
	s_load_b128 s[8:11], s[0:1], 0x0
	v_mul_lo_u16 v1, 0x64, v1
	s_load_b64 s[0:1], s[0:1], 0x38
	s_mov_b32 s26, 0xd2f1a9fc
	s_mov_b32 s27, 0x3f50624d
	s_delay_alu instid0(VALU_DEP_1) | instskip(NEXT) | instid1(VALU_DEP_1)
	v_sub_nc_u16 v0, v0, v1
	v_and_b32_e32 v34, 0xffff, v0
	s_delay_alu instid0(VALU_DEP_1)
	v_lshlrev_b32_e32 v35, 2, v34
	s_wait_kmcnt 0x0
	s_load_b128 s[16:19], s[4:5], 0x0
	s_clause 0x9
	global_load_b32 v30, v35, s[8:9]
	global_load_b32 v28, v35, s[8:9] offset:400
	global_load_b32 v29, v35, s[8:9] offset:800
	;; [unrolled: 1-line block ×9, first 2 shown]
	v_add_nc_u32_e32 v52, 0x200, v35
	v_add_nc_u32_e32 v51, 0x400, v35
	;; [unrolled: 1-line block ×4, first 2 shown]
	s_wait_kmcnt 0x0
	v_mad_co_u64_u32 v[1:2], null, s18, v16, 0
	v_mad_co_u64_u32 v[3:4], null, s16, v34, 0
	s_mul_u64 s[2:3], s[16:17], 0x190
	s_delay_alu instid0(VALU_DEP_1) | instskip(NEXT) | instid1(VALU_DEP_1)
	v_mad_co_u64_u32 v[5:6], null, s19, v16, v[2:3]
	v_mad_co_u64_u32 v[6:7], null, s17, v34, v[4:5]
	v_mov_b32_e32 v2, v5
	s_delay_alu instid0(VALU_DEP_1) | instskip(NEXT) | instid1(VALU_DEP_3)
	v_lshlrev_b64_e32 v[1:2], 2, v[1:2]
	v_mov_b32_e32 v4, v6
	s_delay_alu instid0(VALU_DEP_2) | instskip(NEXT) | instid1(VALU_DEP_2)
	v_add_co_u32 v1, vcc_lo, s14, v1
	v_lshlrev_b64_e32 v[3:4], 2, v[3:4]
	s_delay_alu instid0(VALU_DEP_4) | instskip(NEXT) | instid1(VALU_DEP_2)
	v_add_co_ci_u32_e32 v2, vcc_lo, s15, v2, vcc_lo
	v_add_co_u32 v1, vcc_lo, v1, v3
	s_wait_alu 0xfffd
	s_delay_alu instid0(VALU_DEP_2) | instskip(NEXT) | instid1(VALU_DEP_2)
	v_add_co_ci_u32_e32 v2, vcc_lo, v2, v4, vcc_lo
	v_add_co_u32 v3, vcc_lo, v1, s2
	s_wait_alu 0xfffd
	s_delay_alu instid0(VALU_DEP_2)
	v_add_co_ci_u32_e32 v4, vcc_lo, s3, v2, vcc_lo
	s_clause 0x1
	global_load_b32 v5, v[1:2], off
	global_load_b32 v6, v[3:4], off
	v_add_co_u32 v1, vcc_lo, v3, s2
	s_wait_alu 0xfffd
	v_add_co_ci_u32_e32 v2, vcc_lo, s3, v4, vcc_lo
	s_delay_alu instid0(VALU_DEP_2) | instskip(SKIP_1) | instid1(VALU_DEP_2)
	v_add_co_u32 v3, vcc_lo, v1, s2
	s_wait_alu 0xfffd
	v_add_co_ci_u32_e32 v4, vcc_lo, s3, v2, vcc_lo
	s_clause 0x1
	global_load_b32 v7, v[1:2], off
	global_load_b32 v8, v[3:4], off
	v_add_co_u32 v1, vcc_lo, v3, s2
	s_wait_alu 0xfffd
	v_add_co_ci_u32_e32 v2, vcc_lo, s3, v4, vcc_lo
	s_delay_alu instid0(VALU_DEP_2) | instskip(SKIP_1) | instid1(VALU_DEP_2)
	v_add_co_u32 v3, vcc_lo, v1, s2
	s_wait_alu 0xfffd
	v_add_co_ci_u32_e32 v4, vcc_lo, s3, v2, vcc_lo
	global_load_b32 v9, v[1:2], off
	v_add_co_u32 v1, vcc_lo, v3, s2
	s_wait_alu 0xfffd
	v_add_co_ci_u32_e32 v2, vcc_lo, s3, v4, vcc_lo
	global_load_b32 v10, v[3:4], off
	;; [unrolled: 4-line block ×5, first 2 shown]
	global_load_b32 v2, v[3:4], off
	v_and_b32_e32 v3, 0xff, v0
	s_load_b128 s[4:7], s[6:7], 0x0
	s_add_nc_u64 s[2:3], s[8:9], 0xfa0
	s_delay_alu instid0(VALU_DEP_1) | instskip(NEXT) | instid1(VALU_DEP_1)
	v_mul_lo_u16 v3, 0xcd, v3
	v_lshrrev_b16 v3, 11, v3
	s_delay_alu instid0(VALU_DEP_1) | instskip(SKIP_1) | instid1(VALU_DEP_1)
	v_mul_lo_u16 v13, v3, 10
	v_and_b32_e32 v3, 0xffff, v3
	v_mul_u32_u24_e32 v3, 0x64, v3
	s_wait_kmcnt 0x0
	s_mul_u64 s[24:25], s[4:5], 0x190
	s_wait_loadcnt 0x13
	v_lshrrev_b32_e32 v49, 16, v30
	s_wait_loadcnt 0x12
	v_lshrrev_b32_e32 v48, 16, v28
	;; [unrolled: 2-line block ×8, first 2 shown]
	v_lshrrev_b32_e32 v46, 16, v44
	s_wait_loadcnt 0xa
	v_lshrrev_b32_e32 v42, 16, v40
	s_wait_loadcnt 0x9
	v_lshrrev_b32_e32 v4, 16, v5
	v_mul_f16_e32 v14, v49, v5
	s_wait_loadcnt 0x8
	v_lshrrev_b32_e32 v17, 16, v6
	v_mul_f16_e32 v18, v48, v6
	v_mul_f16_e32 v15, v49, v4
	v_fma_f16 v4, v30, v4, -v14
	s_delay_alu instid0(VALU_DEP_2)
	v_fmac_f16_e32 v15, v30, v5
	v_mul_f16_e32 v5, v48, v17
	v_fma_f16 v17, v28, v17, -v18
	s_wait_loadcnt 0x7
	v_lshrrev_b32_e32 v14, 16, v7
	v_pack_b32_f16 v4, v15, v4
	v_fmac_f16_e32 v5, v28, v6
	s_wait_loadcnt 0x6
	v_lshrrev_b32_e32 v15, 16, v8
	v_mul_f16_e32 v18, v47, v7
	v_mul_f16_e32 v6, v47, v14
	v_pack_b32_f16 v5, v5, v17
	s_delay_alu instid0(VALU_DEP_3) | instskip(NEXT) | instid1(VALU_DEP_3)
	v_fma_f16 v14, v29, v14, -v18
	v_fmac_f16_e32 v6, v29, v7
	v_mul_f16_e32 v7, v39, v15
	s_wait_loadcnt 0x5
	v_lshrrev_b32_e32 v17, 16, v9
	v_mul_f16_e32 v18, v39, v8
	v_mul_f16_e32 v19, v38, v9
	v_pack_b32_f16 v6, v6, v14
	v_fmac_f16_e32 v7, v27, v8
	v_mul_f16_e32 v8, v38, v17
	v_fma_f16 v15, v27, v15, -v18
	v_fma_f16 v14, v31, v17, -v19
	s_wait_loadcnt 0x4
	v_lshrrev_b32_e32 v17, 16, v10
	v_mul_f16_e32 v18, v36, v10
	v_fmac_f16_e32 v8, v31, v9
	s_wait_loadcnt 0x3
	v_lshrrev_b32_e32 v9, 16, v11
	v_pack_b32_f16 v7, v7, v15
	v_mul_f16_e32 v15, v36, v17
	v_fma_f16 v17, v32, v17, -v18
	v_mul_f16_e32 v18, v37, v11
	v_pack_b32_f16 v8, v8, v14
	v_mul_f16_e32 v14, v37, v9
	v_fmac_f16_e32 v15, v32, v10
	s_wait_loadcnt 0x2
	v_lshrrev_b32_e32 v10, 16, v12
	v_fma_f16 v9, v33, v9, -v18
	v_mul_f16_e32 v18, v46, v12
	v_fmac_f16_e32 v14, v33, v11
	s_wait_loadcnt 0x1
	v_lshrrev_b32_e32 v11, 16, v1
	s_wait_loadcnt 0x0
	v_lshrrev_b32_e32 v20, 16, v2
	v_mul_f16_e32 v19, v46, v10
	v_fma_f16 v10, v44, v10, -v18
	v_mul_f16_e32 v18, v43, v1
	v_mul_f16_e32 v21, v43, v11
	;; [unrolled: 1-line block ×4, first 2 shown]
	v_fmac_f16_e32 v19, v44, v12
	v_fma_f16 v11, v41, v11, -v18
	v_fmac_f16_e32 v21, v41, v1
	v_fma_f16 v1, v40, v20, -v22
	v_fmac_f16_e32 v23, v40, v2
	v_pack_b32_f16 v2, v15, v17
	v_pack_b32_f16 v9, v14, v9
	;; [unrolled: 1-line block ×5, first 2 shown]
	ds_store_2addr_b32 v35, v4, v5 offset1:100
	ds_store_2addr_b32 v52, v6, v7 offset0:72 offset1:172
	ds_store_2addr_b32 v51, v8, v2 offset0:144 offset1:244
	;; [unrolled: 1-line block ×4, first 2 shown]
	v_mul_lo_u16 v1, v0, 10
	global_wb scope:SCOPE_SE
	s_wait_dscnt 0x0
	s_barrier_signal -1
	s_barrier_wait -1
	global_inv scope:SCOPE_SE
	ds_load_2addr_b32 v[4:5], v51 offset0:144 offset1:244
	ds_load_2addr_b32 v[6:7], v50 offset0:88 offset1:188
	;; [unrolled: 1-line block ×4, first 2 shown]
	v_sub_nc_u16 v2, v0, v13
	v_and_b32_e32 v12, 0xffff, v1
	ds_load_2addr_b32 v[0:1], v35 offset1:100
	global_wb scope:SCOPE_SE
	s_wait_dscnt 0x0
	s_barrier_signal -1
	v_and_b32_e32 v2, 0xff, v2
	v_lshlrev_b32_e32 v64, 2, v12
	s_barrier_wait -1
	global_inv scope:SCOPE_SE
	v_mad_co_u64_u32 v[17:18], null, v2, 36, s[10:11]
	v_lshrrev_b32_e32 v15, 16, v4
	v_add_f16_e32 v12, v4, v6
	v_lshrrev_b32_e32 v13, 16, v8
	v_lshrrev_b32_e32 v14, 16, v10
	;; [unrolled: 1-line block ×3, first 2 shown]
	v_sub_f16_e32 v20, v10, v6
	v_sub_f16_e32 v21, v8, v4
	v_add_f16_e32 v22, v8, v10
	v_sub_f16_e32 v23, v6, v10
	v_sub_f16_e32 v24, v4, v8
	v_pk_add_f16 v25, v0, v8
	v_add_f16_e32 v54, v5, v7
	v_lshrrev_b32_e32 v55, 16, v9
	v_lshrrev_b32_e32 v56, 16, v11
	;; [unrolled: 1-line block ×4, first 2 shown]
	v_add_f16_e32 v61, v9, v11
	v_pk_add_f16 v65, v1, v9
	v_lshrrev_b32_e32 v26, 16, v0
	v_sub_f16_e32 v53, v4, v6
	v_sub_f16_e32 v59, v11, v7
	;; [unrolled: 1-line block ×5, first 2 shown]
	v_lshrrev_b32_e32 v66, 16, v1
	v_sub_f16_e32 v67, v5, v7
	v_fma_f16 v12, -0.5, v12, v0
	v_sub_f16_e32 v68, v13, v14
	v_sub_f16_e32 v69, v15, v19
	v_add_f16_e32 v20, v21, v20
	v_fma_f16 v21, -0.5, v22, v0
	v_add_f16_e32 v0, v24, v23
	v_pk_add_f16 v4, v25, v4
	v_add_f16_e32 v22, v15, v19
	v_sub_f16_e32 v23, v13, v15
	v_sub_f16_e32 v24, v14, v19
	v_add_f16_e32 v25, v13, v14
	v_sub_f16_e32 v13, v15, v13
	v_sub_f16_e32 v14, v19, v14
	v_fma_f16 v15, -0.5, v54, v1
	v_sub_f16_e32 v19, v55, v56
	v_sub_f16_e32 v54, v57, v58
	v_fma_f16 v1, -0.5, v61, v1
	v_pk_add_f16 v5, v65, v5
	v_add_f16_e32 v61, v57, v58
	v_add_f16_e32 v65, v55, v56
	v_sub_f16_e32 v9, v9, v11
	v_add_f16_e32 v59, v60, v59
	v_add_f16_e32 v60, v63, v62
	v_sub_f16_e32 v62, v55, v57
	v_sub_f16_e32 v63, v56, v58
	;; [unrolled: 1-line block ×4, first 2 shown]
	v_pk_add_f16 v4, v4, v6
	v_fma_f16 v6, -0.5, v22, v26
	v_add_f16_e32 v22, v23, v24
	v_fmac_f16_e32 v26, -0.5, v25
	v_add_f16_e32 v13, v13, v14
	v_fmamk_f16 v14, v19, 0x3b9c, v15
	v_fmamk_f16 v23, v54, 0xbb9c, v1
	v_fmac_f16_e32 v1, 0x3b9c, v54
	v_pk_add_f16 v5, v5, v7
	v_fma_f16 v7, -0.5, v61, v66
	v_fmac_f16_e32 v66, -0.5, v65
	v_fmac_f16_e32 v15, 0xbb9c, v19
	v_sub_f16_e32 v8, v8, v10
	v_fmamk_f16 v58, v69, 0xbb9c, v21
	v_fmac_f16_e32 v21, 0x3b9c, v69
	v_add_f16_e32 v25, v55, v56
	v_fmamk_f16 v55, v53, 0x3b9c, v26
	v_fmac_f16_e32 v26, 0xbb9c, v53
	v_fmac_f16_e32 v14, 0x38b4, v54
	;; [unrolled: 1-line block ×4, first 2 shown]
	v_pk_add_f16 v5, v5, v11
	v_fmamk_f16 v11, v9, 0xbb9c, v7
	v_fmamk_f16 v19, v67, 0x3b9c, v66
	v_fmac_f16_e32 v66, 0xbb9c, v67
	v_fmac_f16_e32 v15, 0xb8b4, v54
	;; [unrolled: 1-line block ×3, first 2 shown]
	v_fmamk_f16 v57, v68, 0x3b9c, v12
	v_fmac_f16_e32 v12, 0xbb9c, v68
	v_add_f16_e32 v24, v62, v63
	v_fmac_f16_e32 v58, 0x38b4, v68
	v_fmac_f16_e32 v21, 0xb8b4, v68
	v_pk_add_f16 v4, v4, v10
	v_fmac_f16_e32 v55, 0xb8b4, v8
	v_fmac_f16_e32 v26, 0x38b4, v8
	;; [unrolled: 1-line block ×10, first 2 shown]
	v_fmamk_f16 v10, v8, 0xbb9c, v6
	v_fmac_f16_e32 v58, 0x34f2, v0
	v_fmac_f16_e32 v21, 0x34f2, v0
	;; [unrolled: 1-line block ×4, first 2 shown]
	v_pk_add_f16 v0, v4, v5
	v_pk_add_f16 v5, v4, v5 neg_lo:[0,1] neg_hi:[0,1]
	v_fmac_f16_e32 v55, 0x34f2, v13
	v_fmac_f16_e32 v26, 0x34f2, v13
	;; [unrolled: 1-line block ×5, first 2 shown]
	v_mul_f16_e32 v4, 0x3a79, v14
	v_mul_f16_e32 v13, 0xb8b4, v14
	v_fmac_f16_e32 v6, 0x3b9c, v8
	v_fmac_f16_e32 v7, 0x34f2, v24
	v_mul_f16_e32 v9, 0xba79, v15
	v_fmac_f16_e32 v57, 0x34f2, v20
	v_fmac_f16_e32 v12, 0x34f2, v20
	;; [unrolled: 1-line block ×3, first 2 shown]
	v_mul_f16_e32 v8, 0xb4f2, v1
	v_mul_f16_e32 v14, 0xbb9c, v23
	v_fmac_f16_e32 v4, 0x38b4, v11
	v_mul_f16_e32 v20, 0x3b9c, v19
	v_fmac_f16_e32 v13, 0x3a79, v11
	;; [unrolled: 2-line block ×3, first 2 shown]
	v_fmac_f16_e32 v9, 0x38b4, v7
	v_mul_f16_e32 v7, 0xba79, v7
	v_fmac_f16_e32 v10, 0x34f2, v22
	v_fmac_f16_e32 v8, 0x3b9c, v66
	;; [unrolled: 1-line block ×7, first 2 shown]
	v_add_f16_e32 v19, v57, v4
	v_add_f16_e32 v22, v21, v8
	;; [unrolled: 1-line block ×5, first 2 shown]
	v_sub_f16_e32 v4, v57, v4
	v_sub_f16_e32 v15, v21, v8
	;; [unrolled: 1-line block ×4, first 2 shown]
	v_add_f16_e32 v13, v58, v20
	v_add_f16_e32 v9, v26, v11
	v_sub_f16_e32 v10, v55, v14
	v_add_f16_e32 v14, v6, v7
	v_sub_f16_e32 v20, v58, v20
	v_sub_f16_e32 v21, v26, v11
	;; [unrolled: 1-line block ×3, first 2 shown]
	v_pack_b32_f16 v1, v19, v24
	v_pack_b32_f16 v6, v4, v8
	;; [unrolled: 1-line block ×8, first 2 shown]
	ds_store_2addr_b64 v64, v[0:1], v[8:9] offset1:1
	ds_store_2addr_b64 v64, v[4:5], v[6:7] offset0:2 offset1:3
	ds_store_b64 v64, v[10:11] offset:32
	global_wb scope:SCOPE_SE
	s_wait_dscnt 0x0
	s_barrier_signal -1
	s_barrier_wait -1
	global_inv scope:SCOPE_SE
	s_clause 0x2
	global_load_b128 v[8:11], v[17:18], off
	global_load_b128 v[12:15], v[17:18], off offset:16
	global_load_b32 v54, v[17:18], off offset:32
	ds_load_2addr_b32 v[0:1], v35 offset1:100
	ds_load_2addr_b32 v[4:5], v52 offset0:72 offset1:172
	ds_load_2addr_b32 v[6:7], v51 offset0:144 offset1:244
	;; [unrolled: 1-line block ×4, first 2 shown]
	v_add_lshl_u32 v65, v3, v2, 2
	v_mad_co_u64_u32 v[21:22], null, v34, 36, s[10:11]
	global_wb scope:SCOPE_SE
	s_wait_loadcnt_dscnt 0x0
	s_barrier_signal -1
	s_barrier_wait -1
	global_inv scope:SCOPE_SE
	v_lshrrev_b32_e32 v3, 16, v1
	v_lshrrev_b32_e32 v23, 16, v4
	;; [unrolled: 1-line block ×19, first 2 shown]
	v_mul_f16_e32 v59, v1, v74
	v_mul_f16_e32 v60, v23, v73
	;; [unrolled: 1-line block ×18, first 2 shown]
	v_fmac_f16_e32 v59, v3, v8
	v_fma_f16 v3, v4, v9, -v60
	v_fmac_f16_e32 v61, v23, v9
	v_fma_f16 v4, v5, v10, -v62
	v_fma_f16 v5, v6, v11, -v75
	v_fmac_f16_e32 v76, v25, v11
	v_fma_f16 v6, v7, v12, -v77
	v_fmac_f16_e32 v78, v26, v12
	;; [unrolled: 2-line block ×5, first 2 shown]
	v_fmac_f16_e32 v63, v24, v10
	v_fma_f16 v19, v20, v54, -v85
	v_fmac_f16_e32 v86, v57, v54
	v_fma_f16 v1, v1, v8, -v58
	v_add_f16_e32 v23, v5, v7
	v_sub_f16_e32 v24, v3, v5
	v_sub_f16_e32 v25, v18, v7
	v_add_f16_e32 v26, v3, v18
	v_sub_f16_e32 v53, v5, v3
	v_sub_f16_e32 v55, v7, v18
	;; [unrolled: 1-line block ×6, first 2 shown]
	v_add_f16_e32 v81, v6, v17
	v_add_f16_e32 v92, v78, v82
	;; [unrolled: 1-line block ×10, first 2 shown]
	v_sub_f16_e32 v83, v4, v6
	v_sub_f16_e32 v88, v6, v4
	v_sub_f16_e32 v90, v63, v78
	v_sub_f16_e32 v95, v78, v63
	v_sub_f16_e32 v63, v63, v86
	v_sub_f16_e32 v4, v4, v19
	v_add_f16_e32 v24, v24, v25
	v_fma_f16 v23, -0.5, v23, v0
	v_fmac_f16_e32 v0, -0.5, v26
	v_add_f16_e32 v25, v53, v55
	v_add_f16_e32 v26, v58, v60
	;; [unrolled: 1-line block ×3, first 2 shown]
	v_fma_f16 v58, -0.5, v81, v1
	v_fma_f16 v75, -0.5, v92, v59
	v_sub_f16_e32 v97, v76, v80
	v_sub_f16_e32 v98, v5, v7
	;; [unrolled: 1-line block ×4, first 2 shown]
	v_fmac_f16_e32 v1, -0.5, v87
	v_fmac_f16_e32 v59, -0.5, v93
	v_add_f16_e32 v5, v20, v5
	v_add_f16_e32 v20, v56, v76
	;; [unrolled: 1-line block ×3, first 2 shown]
	v_sub_f16_e32 v85, v19, v17
	v_sub_f16_e32 v91, v86, v82
	v_sub_f16_e32 v61, v61, v84
	v_fma_f16 v53, -0.5, v57, v2
	v_fmac_f16_e32 v2, -0.5, v62
	v_add_f16_e32 v6, v79, v6
	v_fmamk_f16 v79, v63, 0x3b9c, v58
	v_fmamk_f16 v81, v4, 0xbb9c, v75
	v_sub_f16_e32 v89, v17, v19
	v_sub_f16_e32 v96, v82, v86
	v_sub_f16_e32 v3, v3, v18
	v_add_f16_e32 v5, v5, v7
	v_add_f16_e32 v7, v20, v80
	;; [unrolled: 1-line block ×3, first 2 shown]
	v_fmamk_f16 v80, v99, 0xbb9c, v1
	v_fmac_f16_e32 v1, 0x3b9c, v99
	v_fmamk_f16 v82, v100, 0x3b9c, v59
	v_fmac_f16_e32 v59, 0xbb9c, v100
	v_fmac_f16_e32 v58, 0xbb9c, v63
	;; [unrolled: 1-line block ×3, first 2 shown]
	v_add_f16_e32 v57, v83, v85
	v_add_f16_e32 v62, v90, v91
	;; [unrolled: 1-line block ×3, first 2 shown]
	v_fmamk_f16 v17, v61, 0x3b9c, v23
	v_fmac_f16_e32 v23, 0xbb9c, v61
	v_fmamk_f16 v78, v98, 0x3b9c, v2
	v_fmac_f16_e32 v2, 0xbb9c, v98
	v_fmac_f16_e32 v79, 0x38b4, v99
	;; [unrolled: 1-line block ×3, first 2 shown]
	v_add_f16_e32 v60, v88, v89
	v_add_f16_e32 v56, v95, v96
	v_fmamk_f16 v76, v97, 0xbb9c, v0
	v_fmac_f16_e32 v0, 0x3b9c, v97
	v_fmamk_f16 v77, v3, 0xbb9c, v53
	v_fmac_f16_e32 v53, 0x3b9c, v3
	v_fmac_f16_e32 v80, 0x38b4, v63
	;; [unrolled: 1-line block ×7, first 2 shown]
	v_add_f16_e32 v5, v5, v18
	v_fmac_f16_e32 v17, 0x38b4, v97
	v_fmac_f16_e32 v23, 0xb8b4, v97
	v_add_f16_e32 v7, v7, v84
	v_fmac_f16_e32 v78, 0xb8b4, v3
	v_fmac_f16_e32 v2, 0x38b4, v3
	v_add_f16_e32 v3, v6, v19
	v_add_f16_e32 v6, v20, v86
	v_fmac_f16_e32 v79, 0x34f2, v57
	v_fmac_f16_e32 v81, 0x34f2, v62
	;; [unrolled: 1-line block ×14, first 2 shown]
	v_add_f16_e32 v4, v5, v3
	v_add_f16_e32 v18, v7, v6
	v_sub_f16_e32 v3, v5, v3
	v_sub_f16_e32 v5, v7, v6
	v_mul_f16_e32 v6, 0x38b4, v81
	v_mul_f16_e32 v24, 0xb8b4, v79
	v_fmac_f16_e32 v76, 0x34f2, v25
	v_fmac_f16_e32 v0, 0x34f2, v25
	;; [unrolled: 1-line block ×4, first 2 shown]
	v_mul_f16_e32 v7, 0x3b9c, v82
	v_mul_f16_e32 v19, 0xb4f2, v1
	;; [unrolled: 1-line block ×4, first 2 shown]
	v_fmac_f16_e32 v78, 0x34f2, v55
	v_fmac_f16_e32 v2, 0x34f2, v55
	v_mul_f16_e32 v20, 0xba79, v58
	v_mul_f16_e32 v55, 0xba79, v75
	v_fmac_f16_e32 v6, 0x3a79, v79
	v_fmac_f16_e32 v24, 0x3a79, v81
	;; [unrolled: 1-line block ×8, first 2 shown]
	v_add_f16_e32 v1, v17, v6
	v_add_f16_e32 v57, v77, v24
	v_pack_b32_f16 v4, v4, v18
	v_pack_b32_f16 v3, v3, v5
	v_add_f16_e32 v5, v76, v7
	v_add_f16_e32 v18, v0, v19
	;; [unrolled: 1-line block ×6, first 2 shown]
	v_sub_f16_e32 v6, v17, v6
	v_sub_f16_e32 v7, v76, v7
	;; [unrolled: 1-line block ×8, first 2 shown]
	v_pack_b32_f16 v1, v1, v57
	v_pack_b32_f16 v5, v5, v58
	;; [unrolled: 1-line block ×8, first 2 shown]
	ds_store_2addr_b32 v65, v4, v1 offset1:10
	ds_store_2addr_b32 v65, v5, v18 offset0:20 offset1:30
	ds_store_2addr_b32 v65, v24, v3 offset0:40 offset1:50
	ds_store_2addr_b32 v65, v6, v7 offset0:60 offset1:70
	ds_store_2addr_b32 v65, v0, v2 offset0:80 offset1:90
	global_wb scope:SCOPE_SE
	s_wait_dscnt 0x0
	s_barrier_signal -1
	s_barrier_wait -1
	global_inv scope:SCOPE_SE
	s_clause 0x2
	global_load_b128 v[0:3], v[21:22], off offset:360
	global_load_b128 v[4:7], v[21:22], off offset:376
	global_load_b32 v53, v[21:22], off offset:392
	ds_load_2addr_b32 v[25:26], v52 offset0:72 offset1:172
	ds_load_2addr_b32 v[23:24], v51 offset0:144 offset1:244
	;; [unrolled: 1-line block ×4, first 2 shown]
	ds_load_2addr_b32 v[17:18], v35 offset1:100
	s_wait_dscnt 0x4
	v_lshrrev_b32_e32 v75, 16, v25
	s_wait_dscnt 0x3
	v_lshrrev_b32_e32 v77, 16, v23
	;; [unrolled: 2-line block ×4, first 2 shown]
	v_lshrrev_b32_e32 v76, 16, v26
	v_lshrrev_b32_e32 v78, 16, v24
	v_lshrrev_b32_e32 v80, 16, v22
	v_lshrrev_b32_e32 v82, 16, v20
	s_wait_dscnt 0x0
	v_lshrrev_b32_e32 v84, 16, v18
	v_lshrrev_b32_e32 v83, 16, v17
	s_wait_loadcnt 0x2
	v_lshrrev_b32_e32 v62, 16, v1
	v_lshrrev_b32_e32 v60, 16, v3
	s_wait_loadcnt 0x1
	v_lshrrev_b32_e32 v58, 16, v5
	v_lshrrev_b32_e32 v56, 16, v7
	v_lshrrev_b32_e32 v61, 16, v2
	v_lshrrev_b32_e32 v59, 16, v4
	v_lshrrev_b32_e32 v57, 16, v6
	s_wait_loadcnt 0x0
	v_lshrrev_b32_e32 v55, 16, v53
	v_lshrrev_b32_e32 v63, 16, v0
	v_mul_f16_e32 v85, v75, v62
	v_mul_f16_e32 v89, v77, v60
	;; [unrolled: 1-line block ×18, first 2 shown]
	v_fma_f16 v25, v25, v1, -v85
	v_fma_f16 v23, v23, v3, -v89
	;; [unrolled: 1-line block ×7, first 2 shown]
	v_fmac_f16_e32 v86, v75, v1
	v_fmac_f16_e32 v88, v76, v2
	;; [unrolled: 1-line block ×5, first 2 shown]
	v_fma_f16 v20, v20, v53, -v98
	v_fmac_f16_e32 v100, v82, v53
	v_fmac_f16_e32 v101, v84, v0
	v_fma_f16 v18, v18, v0, -v102
	v_add_f16_e32 v75, v23, v21
	v_add_f16_e32 v76, v25, v19
	v_sub_f16_e32 v78, v23, v25
	v_sub_f16_e32 v79, v21, v19
	v_fmac_f16_e32 v90, v77, v3
	v_fmac_f16_e32 v99, v81, v7
	v_add_f16_e32 v77, v17, v25
	v_add_f16_e32 v80, v24, v22
	;; [unrolled: 1-line block ×4, first 2 shown]
	v_sub_f16_e32 v84, v24, v26
	v_sub_f16_e32 v85, v22, v20
	v_add_f16_e32 v87, v94, v96
	v_add_f16_e32 v89, v88, v100
	;; [unrolled: 1-line block ×3, first 2 shown]
	v_sub_f16_e32 v92, v94, v88
	v_sub_f16_e32 v104, v88, v100
	;; [unrolled: 1-line block ×3, first 2 shown]
	v_add_f16_e32 v112, v83, v86
	v_sub_f16_e32 v26, v26, v24
	v_fma_f16 v75, -0.5, v75, v17
	v_fmac_f16_e32 v17, -0.5, v76
	v_sub_f16_e32 v76, v20, v22
	v_sub_f16_e32 v88, v88, v94
	v_add_f16_e32 v78, v78, v79
	v_sub_f16_e32 v79, v100, v96
	v_sub_f16_e32 v98, v94, v96
	v_sub_f16_e32 v102, v24, v22
	v_sub_f16_e32 v106, v25, v23
	v_fma_f16 v80, -0.5, v80, v18
	v_fmac_f16_e32 v18, -0.5, v81
	v_sub_f16_e32 v81, v23, v21
	v_add_f16_e32 v84, v84, v85
	v_fma_f16 v85, -0.5, v87, v101
	v_fmac_f16_e32 v101, -0.5, v89
	v_add_f16_e32 v26, v26, v76
	v_add_f16_e32 v76, v88, v79
	;; [unrolled: 1-line block ×6, first 2 shown]
	v_sub_f16_e32 v93, v96, v100
	v_sub_f16_e32 v97, v90, v95
	;; [unrolled: 1-line block ×6, first 2 shown]
	v_add_f16_e32 v110, v90, v95
	v_add_f16_e32 v111, v86, v99
	v_sub_f16_e32 v86, v90, v86
	v_sub_f16_e32 v113, v95, v99
	v_fmamk_f16 v88, v98, 0xbb9c, v18
	v_fmac_f16_e32 v18, 0x3b9c, v98
	v_fmamk_f16 v90, v102, 0x3b9c, v101
	v_add_f16_e32 v21, v23, v21
	v_add_f16_e32 v23, v79, v95
	;; [unrolled: 1-line block ×4, first 2 shown]
	v_fmamk_f16 v94, v104, 0x3b9c, v80
	v_fmac_f16_e32 v80, 0xbb9c, v104
	v_fmamk_f16 v95, v105, 0xbb9c, v85
	v_fmac_f16_e32 v101, 0xbb9c, v102
	v_fmac_f16_e32 v85, 0x3b9c, v105
	v_sub_f16_e32 v25, v25, v19
	v_add_f16_e32 v87, v92, v93
	v_fma_f16 v93, -0.5, v110, v83
	v_fmac_f16_e32 v18, 0xb8b4, v104
	v_add_f16_e32 v19, v21, v19
	v_add_f16_e32 v21, v23, v99
	;; [unrolled: 1-line block ×3, first 2 shown]
	v_fmac_f16_e32 v94, 0x38b4, v98
	v_fmac_f16_e32 v80, 0xb8b4, v98
	v_add_f16_e32 v22, v24, v100
	v_fmac_f16_e32 v95, 0xb8b4, v102
	v_fmac_f16_e32 v90, 0xb8b4, v105
	v_fmac_f16_e32 v83, -0.5, v111
	v_fmac_f16_e32 v101, 0x38b4, v105
	v_fmac_f16_e32 v88, 0x38b4, v104
	v_fmamk_f16 v77, v97, 0xbb9c, v17
	v_fmac_f16_e32 v17, 0x3b9c, v97
	v_fmac_f16_e32 v85, 0x38b4, v102
	v_fmamk_f16 v79, v103, 0x3b9c, v75
	v_fmac_f16_e32 v75, 0xbb9c, v103
	v_fmamk_f16 v82, v25, 0xbb9c, v93
	v_fmac_f16_e32 v18, 0x34f2, v84
	v_fmac_f16_e32 v94, 0x34f2, v26
	;; [unrolled: 1-line block ×3, first 2 shown]
	v_add_f16_e32 v23, v19, v20
	v_sub_f16_e32 v19, v19, v20
	v_add_f16_e32 v20, v21, v22
	v_sub_f16_e32 v21, v21, v22
	v_fmac_f16_e32 v95, 0x34f2, v76
	v_fmac_f16_e32 v90, 0x34f2, v87
	v_fmamk_f16 v91, v81, 0x3b9c, v83
	v_fmac_f16_e32 v83, 0xbb9c, v81
	v_fmac_f16_e32 v101, 0x34f2, v87
	;; [unrolled: 1-line block ×7, first 2 shown]
	v_add_f16_e32 v89, v106, v107
	v_add_f16_e32 v92, v108, v109
	v_fmac_f16_e32 v79, 0x38b4, v97
	v_fmac_f16_e32 v75, 0xb8b4, v97
	;; [unrolled: 1-line block ×3, first 2 shown]
	v_mul_f16_e32 v22, 0xb4f2, v18
	v_pack_b32_f16 v20, v23, v20
	v_pack_b32_f16 v19, v19, v21
	v_mul_f16_e32 v21, 0x38b4, v95
	v_mul_f16_e32 v23, 0xb8b4, v94
	;; [unrolled: 1-line block ×4, first 2 shown]
	v_add_f16_e32 v86, v86, v113
	v_fmac_f16_e32 v91, 0xb8b4, v25
	v_fmac_f16_e32 v83, 0x38b4, v25
	v_mul_f16_e32 v25, 0xbb9c, v88
	v_mul_f16_e32 v26, 0xb4f2, v101
	v_fmac_f16_e32 v93, 0x38b4, v81
	v_fmac_f16_e32 v17, 0x34f2, v78
	v_fmac_f16_e32 v77, 0x34f2, v78
	v_mul_f16_e32 v78, 0xba79, v85
	v_fmac_f16_e32 v79, 0x34f2, v89
	v_fmac_f16_e32 v75, 0x34f2, v89
	;; [unrolled: 1-line block ×14, first 2 shown]
	v_add_f16_e32 v18, v17, v22
	v_sub_f16_e32 v17, v17, v22
	v_add_f16_e32 v22, v79, v21
	v_sub_f16_e32 v21, v79, v21
	;; [unrolled: 2-line block ×4, first 2 shown]
	v_add_f16_e32 v76, v82, v23
	v_add_f16_e32 v80, v91, v25
	v_add_f16_e32 v81, v83, v26
	v_sub_f16_e32 v23, v82, v23
	v_add_f16_e32 v82, v93, v78
	v_sub_f16_e32 v25, v91, v25
	v_sub_f16_e32 v26, v83, v26
	;; [unrolled: 1-line block ×3, first 2 shown]
	v_pack_b32_f16 v22, v22, v76
	v_pack_b32_f16 v76, v79, v80
	;; [unrolled: 1-line block ×8, first 2 shown]
	ds_store_2addr_b32 v35, v20, v22 offset1:100
	ds_store_2addr_b32 v52, v76, v18 offset0:72 offset1:172
	ds_store_2addr_b32 v51, v77, v19 offset0:144 offset1:244
	;; [unrolled: 1-line block ×4, first 2 shown]
	global_wb scope:SCOPE_SE
	s_wait_dscnt 0x0
	s_barrier_signal -1
	s_barrier_wait -1
	global_inv scope:SCOPE_SE
	s_clause 0x9
	global_load_b32 v19, v35, s[8:9] offset:4000
	global_load_b32 v20, v35, s[2:3] offset:400
	;; [unrolled: 1-line block ×10, first 2 shown]
	ds_load_2addr_b32 v[17:18], v35 offset1:100
	s_wait_dscnt 0x0
	v_lshrrev_b32_e32 v21, 16, v17
	v_lshrrev_b32_e32 v23, 16, v18
	s_wait_loadcnt 0x9
	v_lshrrev_b32_e32 v22, 16, v19
	s_wait_loadcnt 0x8
	;; [unrolled: 2-line block ×3, first 2 shown]
	v_lshrrev_b32_e32 v83, 16, v75
	v_mul_f16_e32 v81, v21, v22
	v_mul_f16_e32 v22, v17, v22
	;; [unrolled: 1-line block ×4, first 2 shown]
	s_wait_loadcnt 0x4
	v_lshrrev_b32_e32 v84, 16, v76
	v_fma_f16 v17, v17, v19, -v81
	v_fmac_f16_e32 v22, v21, v19
	v_fma_f16 v18, v18, v20, -v82
	v_fmac_f16_e32 v24, v23, v20
	v_lshrrev_b32_e32 v81, 16, v25
	v_lshrrev_b32_e32 v82, 16, v26
	v_pack_b32_f16 v17, v17, v22
	s_wait_loadcnt 0x3
	v_lshrrev_b32_e32 v85, 16, v77
	v_pack_b32_f16 v18, v18, v24
	s_wait_loadcnt 0x2
	v_lshrrev_b32_e32 v86, 16, v78
	s_wait_loadcnt 0x1
	v_lshrrev_b32_e32 v87, 16, v79
	;; [unrolled: 2-line block ×3, first 2 shown]
	ds_store_2addr_b32 v35, v17, v18 offset1:100
	ds_load_2addr_b32 v[17:18], v52 offset0:72 offset1:172
	ds_load_2addr_b32 v[19:20], v51 offset0:144 offset1:244
	;; [unrolled: 1-line block ×4, first 2 shown]
	s_wait_dscnt 0x3
	v_lshrrev_b32_e32 v89, 16, v17
	v_lshrrev_b32_e32 v91, 16, v18
	s_wait_dscnt 0x2
	v_lshrrev_b32_e32 v93, 16, v19
	v_lshrrev_b32_e32 v95, 16, v20
	;; [unrolled: 3-line block ×4, first 2 shown]
	v_mul_f16_e32 v90, v17, v81
	v_mul_f16_e32 v92, v18, v82
	;; [unrolled: 1-line block ×16, first 2 shown]
	v_fmac_f16_e32 v90, v89, v25
	v_fmac_f16_e32 v92, v91, v26
	v_fma_f16 v17, v17, v25, -v81
	v_fma_f16 v18, v18, v26, -v82
	v_fmac_f16_e32 v94, v93, v75
	v_fmac_f16_e32 v96, v95, v76
	v_fma_f16 v19, v19, v75, -v83
	v_fma_f16 v20, v20, v76, -v84
	v_fmac_f16_e32 v98, v97, v77
	v_fmac_f16_e32 v100, v99, v78
	v_fma_f16 v21, v21, v77, -v85
	v_fma_f16 v22, v22, v78, -v86
	v_fmac_f16_e32 v102, v101, v79
	v_fmac_f16_e32 v104, v103, v80
	v_fma_f16 v23, v23, v79, -v87
	v_fma_f16 v24, v24, v80, -v88
	v_pack_b32_f16 v17, v17, v90
	v_pack_b32_f16 v18, v18, v92
	;; [unrolled: 1-line block ×8, first 2 shown]
	ds_store_2addr_b32 v52, v17, v18 offset0:72 offset1:172
	ds_store_2addr_b32 v51, v19, v20 offset0:144 offset1:244
	;; [unrolled: 1-line block ×4, first 2 shown]
	global_wb scope:SCOPE_SE
	s_wait_dscnt 0x0
	s_barrier_signal -1
	s_barrier_wait -1
	global_inv scope:SCOPE_SE
	ds_load_2addr_b32 v[17:18], v52 offset0:72 offset1:172
	ds_load_2addr_b32 v[19:20], v35 offset1:100
	ds_load_2addr_b32 v[21:22], v45 offset0:32 offset1:132
	ds_load_2addr_b32 v[23:24], v50 offset0:88 offset1:188
	;; [unrolled: 1-line block ×3, first 2 shown]
	global_wb scope:SCOPE_SE
	s_wait_dscnt 0x0
	s_barrier_signal -1
	s_barrier_wait -1
	global_inv scope:SCOPE_SE
	v_lshrrev_b32_e32 v87, 16, v17
	v_pk_add_f16 v75, v19, v17
	v_pk_add_f16 v76, v20, v18
	v_lshrrev_b32_e32 v77, 16, v21
	v_sub_f16_e32 v78, v21, v23
	v_add_f16_e32 v79, v17, v21
	v_sub_f16_e32 v80, v23, v21
	v_sub_f16_e32 v81, v17, v21
	v_lshrrev_b32_e32 v82, 16, v22
	v_sub_f16_e32 v83, v22, v24
	v_add_f16_e32 v84, v18, v22
	v_sub_f16_e32 v85, v24, v22
	v_sub_f16_e32 v86, v18, v22
	;; [unrolled: 1-line block ×4, first 2 shown]
	v_lshrrev_b32_e32 v89, 16, v18
	v_sub_f16_e32 v90, v18, v26
	v_sub_f16_e32 v18, v26, v18
	v_add_f16_e32 v91, v25, v23
	v_lshrrev_b32_e32 v92, 16, v25
	v_add_f16_e32 v94, v26, v24
	v_lshrrev_b32_e32 v95, 16, v26
	v_lshrrev_b32_e32 v97, 16, v23
	;; [unrolled: 1-line block ×3, first 2 shown]
	v_sub_f16_e32 v93, v25, v23
	v_sub_f16_e32 v96, v26, v24
	v_lshrrev_b32_e32 v99, 16, v19
	v_lshrrev_b32_e32 v100, 16, v20
	v_pk_add_f16 v25, v75, v25
	v_pk_add_f16 v26, v76, v26
	v_fma_f16 v75, -0.5, v91, v19
	v_fma_f16 v19, -0.5, v79, v19
	;; [unrolled: 1-line block ×4, first 2 shown]
	v_add_f16_e32 v20, v88, v78
	v_add_f16_e32 v17, v17, v80
	v_sub_f16_e32 v78, v92, v97
	v_add_f16_e32 v80, v92, v97
	v_sub_f16_e32 v84, v87, v92
	v_sub_f16_e32 v88, v92, v87
	;; [unrolled: 1-line block ×3, first 2 shown]
	v_add_f16_e32 v87, v87, v77
	v_sub_f16_e32 v92, v77, v97
	v_sub_f16_e32 v77, v97, v77
	v_add_f16_e32 v83, v90, v83
	v_add_f16_e32 v18, v18, v85
	v_sub_f16_e32 v85, v95, v98
	v_add_f16_e32 v90, v95, v98
	v_sub_f16_e32 v94, v89, v95
	v_sub_f16_e32 v95, v95, v89
	;; [unrolled: 1-line block ×3, first 2 shown]
	v_add_f16_e32 v89, v89, v82
	v_pk_add_f16 v23, v25, v23
	v_pk_add_f16 v24, v26, v24
	v_add_f16_e32 v25, v84, v92
	v_fma_f16 v26, -0.5, v80, v99
	v_fmac_f16_e32 v99, -0.5, v87
	v_fma_f16 v84, -0.5, v90, v100
	v_fmac_f16_e32 v100, -0.5, v89
	v_fmamk_f16 v87, v91, 0xbb9c, v75
	v_fmac_f16_e32 v75, 0x3b9c, v91
	v_fmamk_f16 v89, v97, 0xbb9c, v76
	v_fmac_f16_e32 v76, 0x3b9c, v97
	v_sub_f16_e32 v101, v82, v98
	v_sub_f16_e32 v82, v98, v82
	v_add_f16_e32 v77, v88, v77
	v_fmamk_f16 v88, v78, 0x3b9c, v19
	v_fmac_f16_e32 v19, 0xbb9c, v78
	v_fmamk_f16 v90, v85, 0x3b9c, v79
	v_fmac_f16_e32 v79, 0xbb9c, v85
	v_fmac_f16_e32 v87, 0xb8b4, v78
	;; [unrolled: 1-line block ×5, first 2 shown]
	v_fmamk_f16 v78, v86, 0x3b9c, v84
	v_fmac_f16_e32 v84, 0xbb9c, v86
	v_fmamk_f16 v85, v96, 0xbb9c, v100
	v_fmac_f16_e32 v100, 0x3b9c, v96
	v_add_f16_e32 v80, v94, v101
	v_add_f16_e32 v82, v95, v82
	v_pk_add_f16 v21, v23, v21
	v_pk_add_f16 v22, v24, v22
	v_fmac_f16_e32 v90, 0xb8b4, v97
	v_fmac_f16_e32 v79, 0x38b4, v97
	v_fmamk_f16 v23, v81, 0x3b9c, v26
	v_fmac_f16_e32 v26, 0xbb9c, v81
	v_fmamk_f16 v24, v93, 0xbb9c, v99
	v_fmac_f16_e32 v99, 0x3b9c, v93
	v_fmac_f16_e32 v89, 0x34f2, v83
	v_fmac_f16_e32 v78, 0x38b4, v96
	v_fmac_f16_e32 v84, 0xb8b4, v96
	v_fmac_f16_e32 v85, 0x38b4, v86
	v_fmac_f16_e32 v100, 0xb8b4, v86
	v_fmac_f16_e32 v88, 0xb8b4, v91
	v_fmac_f16_e32 v19, 0x38b4, v91
	v_fmac_f16_e32 v23, 0x38b4, v93
	v_fmac_f16_e32 v26, 0xb8b4, v93
	v_fmac_f16_e32 v24, 0x38b4, v81
	v_fmac_f16_e32 v99, 0xb8b4, v81
	v_fmac_f16_e32 v90, 0x34f2, v18
	v_fmac_f16_e32 v79, 0x34f2, v18
	v_fmac_f16_e32 v78, 0x34f2, v80
	v_mul_f16_e32 v18, 0x38b4, v89
	v_fmac_f16_e32 v85, 0x34f2, v82
	v_fmac_f16_e32 v100, 0x34f2, v82
	;; [unrolled: 1-line block ×8, first 2 shown]
	v_pk_add_f16 v17, v21, v22
	v_pk_add_f16 v20, v21, v22 neg_lo:[0,1] neg_hi:[0,1]
	v_fmac_f16_e32 v23, 0x34f2, v25
	v_fmac_f16_e32 v26, 0x34f2, v25
	;; [unrolled: 1-line block ×5, first 2 shown]
	v_mul_f16_e32 v21, 0xb8b4, v78
	v_mul_f16_e32 v22, 0xbb9c, v85
	;; [unrolled: 1-line block ×7, first 2 shown]
	v_fmac_f16_e32 v21, 0x3a79, v89
	v_fmac_f16_e32 v22, 0x34f2, v90
	;; [unrolled: 1-line block ×7, first 2 shown]
	v_add_f16_e32 v76, v23, v18
	v_sub_f16_e32 v23, v23, v18
	v_add_f16_e32 v18, v87, v21
	v_sub_f16_e32 v79, v87, v21
	;; [unrolled: 2-line block ×5, first 2 shown]
	v_add_f16_e32 v80, v24, v25
	v_add_f16_e32 v83, v99, v78
	v_sub_f16_e32 v24, v24, v25
	v_sub_f16_e32 v25, v99, v78
	v_add_f16_e32 v78, v26, v81
	v_sub_f16_e32 v26, v26, v81
	v_pack_b32_f16 v22, v22, v83
	v_pack_b32_f16 v21, v21, v80
	v_pack_b32_f16 v18, v18, v76
	v_pack_b32_f16 v24, v82, v24
	v_pack_b32_f16 v23, v79, v23
	v_pack_b32_f16 v19, v19, v78
	v_pack_b32_f16 v26, v75, v26
	v_pack_b32_f16 v25, v77, v25
	ds_store_2addr_b64 v64, v[17:18], v[21:22] offset1:1
	ds_store_2addr_b64 v64, v[19:20], v[23:24] offset0:2 offset1:3
	ds_store_b64 v64, v[25:26] offset:32
	global_wb scope:SCOPE_SE
	s_wait_dscnt 0x0
	s_barrier_signal -1
	s_barrier_wait -1
	global_inv scope:SCOPE_SE
	ds_load_2addr_b32 v[17:18], v35 offset1:100
	ds_load_2addr_b32 v[19:20], v52 offset0:72 offset1:172
	ds_load_2addr_b32 v[21:22], v51 offset0:144 offset1:244
	;; [unrolled: 1-line block ×4, first 2 shown]
	global_wb scope:SCOPE_SE
	s_wait_dscnt 0x0
	s_barrier_signal -1
	s_barrier_wait -1
	global_inv scope:SCOPE_SE
	v_lshrrev_b32_e32 v64, 16, v18
	v_lshrrev_b32_e32 v75, 16, v19
	;; [unrolled: 1-line block ×6, first 2 shown]
	v_mul_f16_e32 v80, v74, v18
	v_lshrrev_b32_e32 v81, 16, v24
	v_lshrrev_b32_e32 v82, 16, v25
	v_mul_f16_e32 v83, v73, v19
	v_mul_f16_e32 v84, v72, v20
	;; [unrolled: 1-line block ×7, first 2 shown]
	v_lshrrev_b32_e32 v90, 16, v26
	v_mul_f16_e32 v91, v66, v26
	v_mul_f16_e32 v74, v74, v64
	v_fma_f16 v64, v8, v64, -v80
	v_mul_f16_e32 v73, v73, v75
	v_fma_f16 v75, v9, v75, -v83
	;; [unrolled: 2-line block ×9, first 2 shown]
	v_lshrrev_b32_e32 v92, 16, v17
	v_fmac_f16_e32 v74, v8, v18
	v_fmac_f16_e32 v73, v9, v19
	;; [unrolled: 1-line block ×9, first 2 shown]
	v_add_f16_e32 v11, v77, v79
	v_sub_f16_e32 v12, v75, v77
	v_sub_f16_e32 v13, v81, v79
	v_add_f16_e32 v14, v75, v81
	v_add_f16_e32 v21, v64, v76
	;; [unrolled: 1-line block ×3, first 2 shown]
	v_sub_f16_e32 v26, v78, v76
	v_sub_f16_e32 v54, v80, v82
	v_add_f16_e32 v10, v92, v75
	v_sub_f16_e32 v15, v77, v75
	v_sub_f16_e32 v18, v79, v81
	;; [unrolled: 1-line block ×4, first 2 shown]
	v_add_f16_e32 v25, v76, v82
	v_sub_f16_e32 v8, v75, v81
	v_sub_f16_e32 v19, v76, v82
	;; [unrolled: 1-line block ×3, first 2 shown]
	v_add_f16_e32 v75, v17, v73
	v_add_f16_e32 v76, v71, v69
	;; [unrolled: 1-line block ×3, first 2 shown]
	v_sub_f16_e32 v13, v73, v71
	v_fma_f16 v11, -0.5, v11, v92
	v_fmac_f16_e32 v92, -0.5, v14
	v_sub_f16_e32 v14, v67, v69
	v_add_f16_e32 v21, v21, v78
	v_fma_f16 v22, -0.5, v22, v64
	v_add_f16_e32 v26, v26, v54
	v_add_f16_e32 v54, v74, v72
	;; [unrolled: 1-line block ×3, first 2 shown]
	v_sub_f16_e32 v83, v72, v70
	v_add_f16_e32 v85, v72, v66
	v_sub_f16_e32 v86, v70, v72
	v_sub_f16_e32 v72, v72, v66
	;; [unrolled: 1-line block ×3, first 2 shown]
	v_add_f16_e32 v10, v10, v77
	v_add_f16_e32 v15, v15, v18
	;; [unrolled: 1-line block ×3, first 2 shown]
	v_sub_f16_e32 v77, v71, v73
	v_add_f16_e32 v23, v23, v24
	v_sub_f16_e32 v24, v69, v67
	v_sub_f16_e32 v73, v73, v67
	v_fmac_f16_e32 v64, -0.5, v25
	v_sub_f16_e32 v25, v71, v69
	v_sub_f16_e32 v88, v70, v68
	v_add_f16_e32 v71, v75, v71
	v_add_f16_e32 v13, v13, v14
	v_fma_f16 v14, -0.5, v76, v17
	v_add_f16_e32 v54, v54, v70
	v_fma_f16 v70, -0.5, v78, v74
	v_fmamk_f16 v78, v72, 0x3b9c, v22
	v_fmac_f16_e32 v17, -0.5, v18
	v_add_f16_e32 v18, v77, v24
	v_add_f16_e32 v10, v10, v79
	v_fmac_f16_e32 v74, -0.5, v85
	v_fmamk_f16 v75, v73, 0x3b9c, v11
	v_fmac_f16_e32 v11, 0xbb9c, v73
	v_fmamk_f16 v77, v25, 0xbb9c, v92
	v_fmac_f16_e32 v92, 0x3b9c, v25
	;; [unrolled: 2-line block ×3, first 2 shown]
	v_fmac_f16_e32 v22, 0xbb9c, v72
	v_sub_f16_e32 v84, v66, v68
	v_sub_f16_e32 v87, v68, v66
	v_add_f16_e32 v69, v71, v69
	v_fmamk_f16 v71, v8, 0xbb9c, v14
	v_fmac_f16_e32 v14, 0x3b9c, v8
	v_add_f16_e32 v54, v54, v68
	v_fmamk_f16 v68, v19, 0xbb9c, v70
	v_fmac_f16_e32 v78, 0x38b4, v88
	v_add_f16_e32 v21, v21, v80
	v_fmac_f16_e32 v75, 0x38b4, v25
	v_fmac_f16_e32 v11, 0xb8b4, v25
	v_fmamk_f16 v25, v9, 0x3b9c, v17
	v_fmac_f16_e32 v17, 0xbb9c, v9
	v_fmac_f16_e32 v77, 0x38b4, v73
	;; [unrolled: 1-line block ×3, first 2 shown]
	v_fmamk_f16 v73, v20, 0x3b9c, v74
	v_fmac_f16_e32 v74, 0xbb9c, v20
	v_fmac_f16_e32 v79, 0x38b4, v72
	;; [unrolled: 1-line block ×5, first 2 shown]
	v_add_f16_e32 v24, v83, v84
	v_fmac_f16_e32 v71, 0xb8b4, v9
	v_fmac_f16_e32 v14, 0x38b4, v9
	;; [unrolled: 1-line block ×4, first 2 shown]
	v_add_f16_e32 v76, v86, v87
	v_add_f16_e32 v10, v10, v81
	;; [unrolled: 1-line block ×3, first 2 shown]
	v_fmac_f16_e32 v25, 0xb8b4, v8
	v_fmac_f16_e32 v17, 0x38b4, v8
	;; [unrolled: 1-line block ×8, first 2 shown]
	v_add_f16_e32 v67, v69, v67
	v_add_f16_e32 v8, v54, v66
	v_fmac_f16_e32 v71, 0x34f2, v13
	v_fmac_f16_e32 v14, 0x34f2, v13
	;; [unrolled: 1-line block ×3, first 2 shown]
	v_mul_f16_e32 v13, 0xb8b4, v78
	v_mul_f16_e32 v20, 0x3a79, v78
	v_fmac_f16_e32 v77, 0x34f2, v15
	v_fmac_f16_e32 v92, 0x34f2, v15
	v_add_f16_e32 v9, v10, v21
	v_sub_f16_e32 v10, v10, v21
	v_fmac_f16_e32 v25, 0x34f2, v18
	v_fmac_f16_e32 v17, 0x34f2, v18
	;; [unrolled: 1-line block ×4, first 2 shown]
	v_mul_f16_e32 v15, 0xbb9c, v79
	v_mul_f16_e32 v18, 0xbb9c, v64
	;; [unrolled: 1-line block ×4, first 2 shown]
	v_fmac_f16_e32 v70, 0x34f2, v24
	v_mul_f16_e32 v19, 0xb8b4, v22
	v_mul_f16_e32 v22, 0xba79, v22
	v_fmac_f16_e32 v75, 0x34f2, v12
	v_fmac_f16_e32 v11, 0x34f2, v12
	v_add_f16_e32 v12, v67, v8
	v_sub_f16_e32 v8, v67, v8
	v_fmac_f16_e32 v13, 0x3a79, v68
	v_fmac_f16_e32 v20, 0x38b4, v68
	;; [unrolled: 1-line block ×8, first 2 shown]
	v_pack_b32_f16 v8, v8, v10
	v_add_f16_e32 v10, v71, v13
	v_add_f16_e32 v54, v75, v20
	v_pack_b32_f16 v9, v12, v9
	v_add_f16_e32 v12, v25, v15
	v_add_f16_e32 v24, v17, v18
	;; [unrolled: 1-line block ×6, first 2 shown]
	v_sub_f16_e32 v13, v71, v13
	v_sub_f16_e32 v15, v25, v15
	v_sub_f16_e32 v17, v17, v18
	v_sub_f16_e32 v14, v14, v19
	v_sub_f16_e32 v18, v75, v20
	v_sub_f16_e32 v19, v77, v21
	v_sub_f16_e32 v20, v92, v23
	v_sub_f16_e32 v11, v11, v22
	v_pack_b32_f16 v10, v10, v54
	v_pack_b32_f16 v12, v12, v64
	;; [unrolled: 1-line block ×8, first 2 shown]
	ds_store_2addr_b32 v65, v9, v10 offset1:10
	ds_store_2addr_b32 v65, v12, v21 offset0:20 offset1:30
	ds_store_2addr_b32 v65, v22, v8 offset0:40 offset1:50
	;; [unrolled: 1-line block ×4, first 2 shown]
	global_wb scope:SCOPE_SE
	s_wait_dscnt 0x0
	s_barrier_signal -1
	s_barrier_wait -1
	global_inv scope:SCOPE_SE
	ds_load_2addr_b32 v[10:11], v35 offset1:100
	ds_load_2addr_b32 v[17:18], v52 offset0:72 offset1:172
	ds_load_2addr_b32 v[14:15], v51 offset0:144 offset1:244
	;; [unrolled: 1-line block ×4, first 2 shown]
	v_mad_co_u64_u32 v[8:9], null, s6, v16, 0
	s_wait_dscnt 0x4
	s_delay_alu instid0(VALU_DEP_1)
	v_mad_co_u64_u32 v[23:24], null, s7, v16, v[9:10]
	v_lshrrev_b32_e32 v16, 16, v11
	s_wait_dscnt 0x3
	v_lshrrev_b32_e32 v24, 16, v17
	v_lshrrev_b32_e32 v25, 16, v18
	s_wait_dscnt 0x2
	v_lshrrev_b32_e32 v26, 16, v14
	v_lshrrev_b32_e32 v54, 16, v15
	s_wait_dscnt 0x1
	v_lshrrev_b32_e32 v64, 16, v21
	v_lshrrev_b32_e32 v65, 16, v22
	s_wait_dscnt 0x0
	v_lshrrev_b32_e32 v66, 16, v19
	v_lshrrev_b32_e32 v67, 16, v20
	v_mul_f16_e32 v68, v63, v11
	v_mul_f16_e32 v69, v62, v17
	v_mul_f16_e32 v70, v61, v18
	v_mul_f16_e32 v71, v60, v14
	v_mul_f16_e32 v72, v59, v15
	v_mul_f16_e32 v73, v58, v21
	v_mul_f16_e32 v74, v57, v22
	v_mul_f16_e32 v75, v56, v19
	v_mul_f16_e32 v76, v55, v20
	v_lshrrev_b32_e32 v9, 16, v10
	v_mul_f16_e32 v63, v63, v16
	v_fma_f16 v16, v0, v16, -v68
	v_mul_f16_e32 v62, v62, v24
	v_fma_f16 v24, v1, v24, -v69
	;; [unrolled: 2-line block ×9, first 2 shown]
	v_fmac_f16_e32 v63, v0, v11
	v_fmac_f16_e32 v62, v1, v17
	;; [unrolled: 1-line block ×9, first 2 shown]
	v_add_f16_e32 v2, v9, v24
	v_add_f16_e32 v3, v26, v64
	v_sub_f16_e32 v4, v24, v26
	v_sub_f16_e32 v5, v66, v64
	v_add_f16_e32 v6, v24, v66
	v_sub_f16_e32 v7, v26, v24
	v_sub_f16_e32 v11, v64, v66
	v_add_f16_e32 v17, v16, v25
	v_add_f16_e32 v18, v54, v65
	;; [unrolled: 1-line block ×3, first 2 shown]
	v_sub_f16_e32 v1, v26, v64
	v_sub_f16_e32 v14, v25, v67
	;; [unrolled: 1-line block ×5, first 2 shown]
	v_add_f16_e32 v25, v10, v62
	v_sub_f16_e32 v68, v62, v60
	v_add_f16_e32 v70, v62, v56
	v_sub_f16_e32 v71, v60, v62
	v_add_f16_e32 v2, v2, v26
	v_fma_f16 v3, -0.5, v3, v9
	v_sub_f16_e32 v26, v62, v56
	v_sub_f16_e32 v62, v60, v58
	v_add_f16_e32 v4, v4, v5
	v_fmac_f16_e32 v9, -0.5, v6
	v_add_f16_e32 v5, v7, v11
	v_add_f16_e32 v7, v59, v57
	;; [unrolled: 1-line block ×3, first 2 shown]
	v_fma_f16 v18, -0.5, v18, v16
	v_sub_f16_e32 v54, v61, v55
	v_add_f16_e32 v6, v63, v61
	v_sub_f16_e32 v11, v61, v59
	v_add_f16_e32 v74, v61, v55
	v_sub_f16_e32 v75, v59, v61
	v_sub_f16_e32 v61, v59, v57
	v_fmac_f16_e32 v16, -0.5, v21
	v_sub_f16_e32 v0, v24, v66
	v_sub_f16_e32 v20, v67, v65
	;; [unrolled: 1-line block ×3, first 2 shown]
	v_add_f16_e32 v53, v60, v58
	v_add_f16_e32 v21, v25, v60
	;; [unrolled: 1-line block ×3, first 2 shown]
	v_fmamk_f16 v60, v62, 0xbb9c, v9
	v_fmac_f16_e32 v9, 0x3b9c, v62
	v_fma_f16 v7, -0.5, v7, v63
	v_fmamk_f16 v64, v54, 0x3b9c, v18
	v_add_f16_e32 v6, v6, v59
	v_fmac_f16_e32 v63, -0.5, v74
	v_add_f16_e32 v17, v17, v65
	v_fmamk_f16 v65, v61, 0xbb9c, v16
	v_fmac_f16_e32 v16, 0x3b9c, v61
	v_fmac_f16_e32 v18, 0xbb9c, v54
	v_sub_f16_e32 v69, v56, v58
	v_sub_f16_e32 v73, v55, v57
	v_add_f16_e32 v19, v19, v20
	v_add_f16_e32 v20, v22, v24
	v_fma_f16 v22, -0.5, v53, v10
	v_fmac_f16_e32 v10, -0.5, v70
	v_fmamk_f16 v53, v26, 0x3b9c, v3
	v_fmac_f16_e32 v3, 0xbb9c, v26
	v_fmac_f16_e32 v60, 0x38b4, v26
	;; [unrolled: 1-line block ×3, first 2 shown]
	v_fmamk_f16 v26, v14, 0xbb9c, v7
	v_fmac_f16_e32 v64, 0x38b4, v61
	v_sub_f16_e32 v76, v57, v55
	v_add_f16_e32 v6, v6, v57
	v_fmac_f16_e32 v7, 0x3b9c, v14
	v_fmamk_f16 v57, v15, 0x3b9c, v63
	v_fmac_f16_e32 v63, 0xbb9c, v15
	v_fmac_f16_e32 v65, 0x38b4, v54
	;; [unrolled: 1-line block ×4, first 2 shown]
	v_sub_f16_e32 v72, v58, v56
	v_add_f16_e32 v24, v68, v69
	v_add_f16_e32 v11, v11, v73
	;; [unrolled: 1-line block ×3, first 2 shown]
	v_fmamk_f16 v58, v0, 0xbb9c, v22
	v_fmamk_f16 v68, v1, 0x3b9c, v10
	v_fmac_f16_e32 v10, 0xbb9c, v1
	v_fmac_f16_e32 v26, 0xb8b4, v15
	;; [unrolled: 1-line block ×3, first 2 shown]
	v_add_f16_e32 v59, v75, v76
	v_fmac_f16_e32 v22, 0x3b9c, v0
	v_add_f16_e32 v2, v2, v66
	v_add_f16_e32 v17, v17, v67
	v_fmac_f16_e32 v7, 0x38b4, v15
	v_fmac_f16_e32 v57, 0xb8b4, v14
	;; [unrolled: 1-line block ×8, first 2 shown]
	v_add_f16_e32 v21, v21, v56
	v_fmac_f16_e32 v58, 0xb8b4, v1
	v_fmac_f16_e32 v68, 0xb8b4, v0
	;; [unrolled: 1-line block ×5, first 2 shown]
	v_add_f16_e32 v0, v6, v55
	v_fmac_f16_e32 v26, 0x34f2, v11
	v_mul_f16_e32 v5, 0xb8b4, v64
	v_mul_f16_e32 v15, 0x3a79, v64
	v_add_f16_e32 v25, v71, v72
	v_fmac_f16_e32 v22, 0x38b4, v1
	v_add_f16_e32 v1, v2, v17
	v_sub_f16_e32 v2, v2, v17
	v_fmac_f16_e32 v7, 0x34f2, v11
	v_fmac_f16_e32 v57, 0x34f2, v59
	v_fmac_f16_e32 v63, 0x34f2, v59
	v_mul_f16_e32 v6, 0xbb9c, v65
	v_mul_f16_e32 v11, 0xbb9c, v16
	;; [unrolled: 1-line block ×6, first 2 shown]
	v_fmac_f16_e32 v53, 0x34f2, v4
	v_fmac_f16_e32 v3, 0x34f2, v4
	;; [unrolled: 1-line block ×3, first 2 shown]
	v_add_f16_e32 v4, v21, v0
	v_sub_f16_e32 v0, v21, v0
	v_fmac_f16_e32 v5, 0x3a79, v26
	v_fmac_f16_e32 v15, 0x38b4, v26
	;; [unrolled: 1-line block ×11, first 2 shown]
	v_pack_b32_f16 v0, v0, v2
	v_add_f16_e32 v2, v58, v5
	v_add_f16_e32 v20, v53, v15
	v_pack_b32_f16 v1, v4, v1
	v_add_f16_e32 v4, v68, v6
	v_add_f16_e32 v7, v10, v11
	;; [unrolled: 1-line block ×6, first 2 shown]
	v_sub_f16_e32 v5, v58, v5
	v_sub_f16_e32 v6, v68, v6
	;; [unrolled: 1-line block ×8, first 2 shown]
	v_pack_b32_f16 v2, v2, v20
	v_pack_b32_f16 v4, v4, v21
	;; [unrolled: 1-line block ×8, first 2 shown]
	ds_store_2addr_b32 v35, v1, v2 offset1:100
	ds_store_2addr_b32 v52, v4, v7 offset0:72 offset1:172
	ds_store_2addr_b32 v51, v16, v0 offset0:144 offset1:244
	;; [unrolled: 1-line block ×4, first 2 shown]
	v_mov_b32_e32 v9, v23
	v_mad_co_u64_u32 v[12:13], null, s4, v34, 0
	global_wb scope:SCOPE_SE
	s_wait_dscnt 0x0
	s_barrier_signal -1
	s_barrier_wait -1
	global_inv scope:SCOPE_SE
	ds_load_2addr_b32 v[0:1], v35 offset1:100
	v_lshlrev_b64_e32 v[8:9], 2, v[8:9]
	v_mad_co_u64_u32 v[2:3], null, s5, v34, v[13:14]
	ds_load_2addr_b32 v[14:15], v51 offset0:144 offset1:244
	ds_load_2addr_b32 v[3:4], v50 offset0:88 offset1:188
	v_mov_b32_e32 v13, v2
	ds_load_2addr_b32 v[6:7], v52 offset0:72 offset1:172
	v_add_co_u32 v2, vcc_lo, s0, v8
	s_wait_alu 0xfffd
	v_add_co_ci_u32_e32 v50, vcc_lo, s1, v9, vcc_lo
	v_lshlrev_b64_e32 v[18:19], 2, v[12:13]
	s_wait_dscnt 0x3
	v_lshrrev_b32_e32 v8, 16, v0
	v_mul_f16_e32 v9, v49, v0
	v_lshrrev_b32_e32 v10, 16, v1
	v_mul_f16_e32 v11, v48, v1
	s_wait_dscnt 0x2
	v_lshrrev_b32_e32 v20, 16, v14
	v_mul_f16_e32 v26, v49, v8
	v_fma_f16 v8, v30, v8, -v9
	v_mul_f16_e32 v21, v38, v14
	v_fma_f16 v9, v28, v10, -v11
	v_lshrrev_b32_e32 v22, 16, v15
	v_mul_f16_e32 v23, v36, v15
	s_wait_dscnt 0x0
	v_lshrrev_b32_e32 v12, 16, v6
	v_mul_f16_e32 v13, v47, v6
	v_lshrrev_b32_e32 v16, 16, v7
	v_mul_f16_e32 v17, v39, v7
	v_cvt_f32_f16_e32 v8, v8
	v_mul_f16_e32 v34, v48, v10
	v_fma_f16 v10, v29, v12, -v13
	v_mul_f16_e32 v35, v47, v12
	v_fma_f16 v11, v27, v16, -v17
	v_cvt_f32_f16_e32 v17, v9
	v_cvt_f64_f32_e32 v[8:9], v8
	v_mul_f16_e32 v12, v39, v16
	v_mul_f16_e32 v13, v38, v20
	v_fma_f16 v16, v31, v20, -v21
	v_mul_f16_e32 v20, v36, v22
	v_fma_f16 v21, v32, v22, -v23
	v_fmac_f16_e32 v26, v30, v0
	v_cvt_f32_f16_e32 v0, v10
	v_cvt_f64_f32_e32 v[22:23], v17
	v_fmac_f16_e32 v34, v28, v1
	v_fmac_f16_e32 v35, v29, v6
	v_cvt_f32_f16_e32 v1, v11
	v_cvt_f32_f16_e32 v6, v16
	v_cvt_f64_f32_e32 v[16:17], v0
	v_lshrrev_b32_e32 v24, 16, v3
	v_mul_f16_e32 v25, v37, v3
	v_cvt_f64_f32_e32 v[10:11], v1
	v_cvt_f32_f16_e32 v0, v21
	v_lshrrev_b32_e32 v5, 16, v4
	v_mul_f16_e32 v47, v37, v24
	v_fma_f16 v24, v33, v24, -v25
	v_cvt_f64_f32_e32 v[36:37], v6
	v_cvt_f64_f32_e32 v[38:39], v0
	v_mul_f16_e32 v25, v46, v5
	v_fmac_f16_e32 v20, v32, v15
	v_cvt_f32_f16_e32 v1, v24
	v_fmac_f16_e32 v47, v33, v3
	v_cvt_f32_f16_e32 v0, v26
	v_fmac_f16_e32 v13, v31, v14
	v_fmac_f16_e32 v12, v27, v7
	v_cvt_f64_f32_e32 v[14:15], v1
	v_fmac_f16_e32 v25, v44, v4
	v_cvt_f32_f16_e32 v3, v34
	v_cvt_f32_f16_e32 v21, v35
	v_cvt_f64_f32_e32 v[34:35], v0
	v_cvt_f32_f16_e32 v0, v20
	v_cvt_f32_f16_e32 v20, v47
	;; [unrolled: 1-line block ×5, first 2 shown]
	v_cvt_f64_f32_e32 v[12:13], v21
	v_cvt_f64_f32_e32 v[30:31], v20
	v_mul_f64_e32 v[20:21], s[26:27], v[8:9]
	v_cvt_f64_f32_e32 v[6:7], v3
	v_cvt_f64_f32_e32 v[32:33], v32
	;; [unrolled: 1-line block ×3, first 2 shown]
	v_mul_f64_e32 v[22:23], s[26:27], v[22:23]
	ds_load_2addr_b32 v[8:9], v45 offset0:32 offset1:132
	v_mul_f16_e32 v4, v46, v4
	v_cvt_f64_f32_e32 v[26:27], v1
	v_add_co_u32 v2, vcc_lo, v2, v18
	v_mul_f64_e32 v[47:48], s[26:27], v[16:17]
	v_cvt_f64_f32_e32 v[28:29], v0
	v_mul_f64_e32 v[45:46], s[26:27], v[10:11]
	s_wait_alu 0xfffd
	v_add_co_ci_u32_e32 v3, vcc_lo, v50, v19, vcc_lo
	v_add_co_u32 v0, vcc_lo, v2, s24
	v_mul_f64_e32 v[36:37], s[26:27], v[36:37]
	v_mul_f64_e32 v[38:39], s[26:27], v[38:39]
	s_wait_alu 0xfffd
	v_add_co_ci_u32_e32 v1, vcc_lo, s25, v3, vcc_lo
	v_add_co_u32 v18, vcc_lo, v0, s24
	v_fma_f16 v4, v44, v5, -v4
	s_wait_alu 0xfffd
	s_delay_alu instid0(VALU_DEP_3) | instskip(SKIP_3) | instid1(VALU_DEP_3)
	v_add_co_ci_u32_e32 v19, vcc_lo, s25, v1, vcc_lo
	v_mul_f64_e32 v[10:11], s[26:27], v[14:15]
	v_add_co_u32 v16, vcc_lo, v18, s24
	s_wait_alu 0xfffd
	v_add_co_ci_u32_e32 v17, vcc_lo, s25, v19, vcc_lo
	v_mul_f64_e32 v[49:50], s[26:27], v[34:35]
	v_cvt_f32_f16_e32 v44, v4
	v_add_co_u32 v4, vcc_lo, v16, s24
	s_wait_alu 0xfffd
	v_add_co_ci_u32_e32 v5, vcc_lo, s25, v17, vcc_lo
	v_mul_f64_e32 v[53:54], s[26:27], v[12:13]
	v_mul_f64_e32 v[12:13], s[26:27], v[30:31]
	v_and_or_b32 v30, 0x1ff, v21, v20
	v_mul_f64_e32 v[51:52], s[26:27], v[6:7]
	v_mul_f64_e32 v[6:7], s[26:27], v[32:33]
	v_and_or_b32 v33, 0x1ff, v23, v22
	v_mul_f64_e32 v[55:56], s[26:27], v[24:25]
	v_cmp_ne_u32_e32 vcc_lo, 0, v30
	v_mul_f64_e32 v[26:27], s[26:27], v[26:27]
	v_cvt_f64_f32_e32 v[14:15], v44
	v_lshrrev_b32_e32 v31, 8, v21
	v_and_or_b32 v47, 0x1ff, v48, v47
	s_wait_alu 0xfffd
	v_cndmask_b32_e64 v30, 0, 1, vcc_lo
	v_cmp_ne_u32_e32 vcc_lo, 0, v33
	v_and_or_b32 v45, 0x1ff, v46, v45
	v_mul_f64_e32 v[28:29], s[26:27], v[28:29]
	v_bfe_u32 v32, v21, 20, 11
	v_lshrrev_b32_e32 v20, 16, v21
	s_wait_alu 0xfffd
	v_cndmask_b32_e64 v33, 0, 1, vcc_lo
	v_cmp_ne_u32_e32 vcc_lo, 0, v47
	v_and_or_b32 v36, 0x1ff, v37, v36
	v_lshrrev_b32_e32 v35, 8, v23
	v_bfe_u32 v44, v23, 20, 11
	v_lshrrev_b32_e32 v21, 16, v23
	s_wait_alu 0xfffd
	v_cndmask_b32_e64 v47, 0, 1, vcc_lo
	v_cmp_ne_u32_e32 vcc_lo, 0, v45
	v_lshrrev_b32_e32 v57, 8, v48
	v_bfe_u32 v58, v48, 20, 11
	v_lshrrev_b32_e32 v22, 16, v48
	v_lshrrev_b32_e32 v48, 8, v46
	v_bfe_u32 v59, v46, 20, 11
	v_lshrrev_b32_e32 v23, 16, v46
	;; [unrolled: 3-line block ×3, first 2 shown]
	v_and_or_b32 v37, 0x1ff, v39, v38
	s_wait_alu 0xfffd
	v_cndmask_b32_e64 v45, 0, 1, vcc_lo
	v_cmp_ne_u32_e32 vcc_lo, 0, v36
	v_lshrrev_b32_e32 v38, 8, v39
	v_bfe_u32 v61, v39, 20, 11
	v_lshrrev_b32_e32 v25, 16, v39
	v_and_or_b32 v39, 0x1ff, v11, v10
	s_wait_alu 0xfffd
	v_cndmask_b32_e64 v36, 0, 1, vcc_lo
	v_cmp_ne_u32_e32 vcc_lo, 0, v37
	v_and_or_b32 v49, 0x1ff, v50, v49
	v_and_or_b32 v51, 0x1ff, v52, v51
	;; [unrolled: 1-line block ×4, first 2 shown]
	s_wait_alu 0xfffd
	v_cndmask_b32_e64 v37, 0, 1, vcc_lo
	v_cmp_ne_u32_e32 vcc_lo, 0, v39
	v_and_or_b32 v55, 0x1ff, v56, v55
	v_and_or_b32 v26, 0x1ff, v27, v26
	;; [unrolled: 1-line block ×4, first 2 shown]
	s_wait_alu 0xfffd
	v_cndmask_b32_e64 v39, 0, 1, vcc_lo
	v_cmp_ne_u32_e32 vcc_lo, 0, v49
	v_and_or_b32 v36, 0xffe, v46, v36
	v_lshrrev_b32_e32 v66, 8, v52
	v_bfe_u32 v67, v52, 20, 11
	v_lshrrev_b32_e32 v78, 8, v29
	s_wait_alu 0xfffd
	v_cndmask_b32_e64 v35, 0, 1, vcc_lo
	v_cmp_ne_u32_e32 vcc_lo, 0, v51
	v_bfe_u32 v79, v29, 20, 11
	v_and_or_b32 v81, 0x1ff, v13, v12
	v_lshrrev_b32_e32 v62, 8, v11
	v_bfe_u32 v64, v50, 20, 11
	s_wait_alu 0xfffd
	v_cndmask_b32_e64 v49, 0, 1, vcc_lo
	v_cmp_ne_u32_e32 vcc_lo, 0, v53
	v_lshrrev_b32_e32 v69, 8, v54
	v_bfe_u32 v70, v54, 20, 11
	v_bfe_u32 v76, v27, 20, 11
	v_sub_nc_u32_e32 v85, 0x3f1, v67
	s_wait_alu 0xfffd
	v_cndmask_b32_e64 v48, 0, 1, vcc_lo
	v_cmp_ne_u32_e32 vcc_lo, 0, v55
	v_add_nc_u32_e32 v67, 0xfffffc10, v67
	v_sub_nc_u32_e32 v89, 0x3f1, v79
	v_add_nc_u32_e32 v79, 0xfffffc10, v79
	v_and_or_b32 v30, 0xffe, v31, v30
	s_wait_alu 0xfffd
	v_cndmask_b32_e64 v46, 0, 1, vcc_lo
	v_cmp_ne_u32_e32 vcc_lo, 0, v26
	v_and_or_b32 v49, 0xffe, v66, v49
	v_sub_nc_u32_e32 v65, 0x3f1, v32
	v_lshrrev_b32_e32 v72, 8, v56
	v_bfe_u32 v73, v56, 20, 11
	s_wait_alu 0xfffd
	v_cndmask_b32_e64 v26, 0, 1, vcc_lo
	v_cmp_ne_u32_e32 vcc_lo, 0, v28
	v_sub_nc_u32_e32 v77, 0x3f1, v60
	v_sub_nc_u32_e32 v84, 0x3f1, v64
	;; [unrolled: 1-line block ×3, first 2 shown]
	v_add_nc_u32_e32 v70, 0xfffffc10, v70
	s_wait_alu 0xfffd
	v_cndmask_b32_e64 v28, 0, 1, vcc_lo
	v_cmp_ne_u32_e32 vcc_lo, 0, v81
	v_sub_nc_u32_e32 v88, 0x3f1, v76
	v_and_or_b32 v37, 0xffe, v38, v37
	v_and_or_b32 v38, 0xffe, v62, v39
	;; [unrolled: 1-line block ×3, first 2 shown]
	s_wait_alu 0xfffd
	v_cndmask_b32_e64 v39, 0, 1, vcc_lo
	v_and_or_b32 v48, 0xffe, v69, v48
	v_cmp_ne_u32_e32 vcc_lo, 0, v30
	v_lshl_or_b32 v97, v67, 12, v49
	v_add_nc_u32_e32 v32, 0xfffffc10, v32
	v_lshl_or_b32 v108, v79, 12, v28
	v_add_nc_u32_e32 v60, 0xfffffc10, v60
	v_sub_nc_u32_e32 v68, 0x3f1, v44
	v_sub_nc_u32_e32 v87, 0x3f1, v73
	v_and_or_b32 v47, 0xffe, v57, v47
	v_med3_i32 v51, v84, 0, 13
	v_med3_i32 v62, v88, 0, 13
	v_lshl_or_b32 v81, v32, 12, v30
	v_or_b32_e32 v84, 0x1000, v30
	v_and_or_b32 v46, 0xffe, v72, v46
	v_lshl_or_b32 v88, v60, 12, v36
	v_add_nc_u32_e32 v73, 0xfffffc10, v73
	s_wait_alu 0xfffd
	v_cndmask_b32_e64 v30, 0, 1, vcc_lo
	v_cmp_ne_u32_e32 vcc_lo, 0, v33
	v_lshl_or_b32 v101, v70, 12, v48
	v_add_nc_u32_e32 v44, 0xfffffc10, v44
	v_sub_nc_u32_e32 v71, 0x3f1, v58
	v_med3_i32 v53, v85, 0, 13
	v_or_b32_e32 v66, 0x1000, v33
	v_lshl_or_b32 v103, v73, 12, v46
	v_add_nc_u32_e32 v58, 0xfffffc10, v58
	v_lshl_or_b32 v85, v44, 12, v33
	s_wait_alu 0xfffd
	v_cndmask_b32_e64 v33, 0, 1, vcc_lo
	v_cmp_ne_u32_e32 vcc_lo, 0, v47
	v_sub_nc_u32_e32 v74, 0x3f1, v59
	v_add_nc_u32_e32 v59, 0xfffffc10, v59
	v_med3_i32 v55, v86, 0, 13
	v_or_b32_e32 v69, 0x1000, v47
	v_lshl_or_b32 v86, v58, 12, v47
	s_wait_alu 0xfffd
	v_cndmask_b32_e64 v47, 0, 1, vcc_lo
	v_cmp_ne_u32_e32 vcc_lo, 0, v45
	v_lshrrev_b32_e32 v63, 8, v50
	v_lshrrev_b32_e32 v75, 8, v27
	;; [unrolled: 1-line block ×3, first 2 shown]
	v_bfe_u32 v12, v13, 20, 11
	v_med3_i32 v57, v87, 0, 13
	v_or_b32_e32 v72, 0x1000, v45
	v_lshl_or_b32 v87, v59, 12, v45
	s_wait_alu 0xfffd
	v_cndmask_b32_e64 v45, 0, 1, vcc_lo
	v_cmp_ne_u32_e32 vcc_lo, 0, v36
	v_sub_nc_u32_e32 v80, 0x3f1, v61
	v_add_nc_u32_e32 v61, 0xfffffc10, v61
	v_sub_nc_u32_e32 v31, 0x3f1, v12
	v_and_or_b32 v35, 0xffe, v63, v35
	v_and_or_b32 v26, 0xffe, v75, v26
	v_or_b32_e32 v75, 0x1000, v36
	v_and_or_b32 v39, 0xffe, v82, v39
	s_wait_alu 0xfffd
	v_cndmask_b32_e64 v36, 0, 1, vcc_lo
	v_cmp_ne_u32_e32 vcc_lo, 0, v37
	v_lshl_or_b32 v45, v45, 9, 0x7c00
	v_add_nc_u32_e32 v12, 0xfffffc10, v12
	v_med3_i32 v63, v89, 0, 13
	v_or_b32_e32 v78, 0x1000, v37
	v_lshl_or_b32 v89, v61, 12, v37
	s_wait_alu 0xfffd
	v_cndmask_b32_e64 v37, 0, 1, vcc_lo
	v_lshl_or_b32 v109, v12, 12, v39
	v_add_nc_u32_e32 v64, 0xfffffc10, v64
	v_cmp_ne_u32_e32 vcc_lo, 0, v35
	v_or_b32_e32 v94, 0x1000, v35
	v_or_b32_e32 v96, 0x1000, v49
	v_med3_i32 v68, v68, 0, 13
	v_lshl_or_b32 v95, v64, 12, v35
	s_wait_alu 0xfffd
	v_cndmask_b32_e64 v35, 0, 1, vcc_lo
	v_cmp_ne_u32_e32 vcc_lo, 0, v49
	v_or_b32_e32 v99, 0x1000, v48
	v_med3_i32 v65, v65, 0, 13
	v_med3_i32 v71, v71, 0, 13
	v_lshrrev_b32_e32 v98, v68, v66
	s_wait_alu 0xfffd
	v_cndmask_b32_e64 v49, 0, 1, vcc_lo
	v_cmp_ne_u32_e32 vcc_lo, 0, v48
	v_or_b32_e32 v100, 0x1000, v46
	v_lshl_or_b32 v47, v47, 9, 0x7c00
	v_add_nc_u32_e32 v76, 0xfffffc10, v76
	v_med3_i32 v77, v77, 0, 13
	s_wait_alu 0xfffd
	v_cndmask_b32_e64 v48, 0, 1, vcc_lo
	v_cmp_ne_u32_e32 vcc_lo, 0, v46
	v_lshrrev_b32_e32 v90, v65, v84
	v_lshrrev_b32_e32 v91, v71, v69
	v_or_b32_e32 v102, 0x1000, v26
	v_lshl_or_b32 v107, v76, 12, v26
	s_wait_alu 0xfffd
	v_cndmask_b32_e64 v46, 0, 1, vcc_lo
	v_cmp_ne_u32_e32 vcc_lo, 0, v26
	v_lshlrev_b32_e32 v68, v68, v98
	v_med3_i32 v80, v80, 0, 13
	v_lshrrev_b32_e32 v92, v77, v75
	v_or_b32_e32 v104, 0x1000, v28
	s_wait_alu 0xfffd
	v_cndmask_b32_e64 v26, 0, 1, vcc_lo
	v_cmp_ne_u32_e32 vcc_lo, 0, v28
	v_lshlrev_b32_e32 v65, v65, v90
	v_lshlrev_b32_e32 v71, v71, v91
	v_lshrrev_b32_e32 v93, v80, v78
	v_lshlrev_b32_e32 v77, v77, v92
	s_wait_alu 0xfffd
	v_cndmask_b32_e64 v28, 0, 1, vcc_lo
	v_cmp_ne_u32_e32 vcc_lo, v68, v66
	v_cmp_ne_u32_e64 s1, v65, v84
	v_lshlrev_b32_e32 v80, v80, v93
	v_lshrrev_b32_e32 v111, v51, v94
	v_lshrrev_b32_e32 v112, v53, v96
	s_wait_alu 0xfffd
	v_cndmask_b32_e64 v84, 0, 1, vcc_lo
	v_cmp_ne_u32_e32 vcc_lo, v71, v69
	v_lshl_or_b32 v28, v28, 9, 0x7c00
	v_lshlrev_b32_e32 v51, v51, v111
	v_med3_i32 v74, v74, 0, 13
	v_lshrrev_b32_e32 v113, v55, v99
	s_wait_alu 0xfffd
	v_cndmask_b32_e64 v69, 0, 1, vcc_lo
	v_cmp_ne_u32_e32 vcc_lo, v77, v75
	v_lshlrev_b32_e32 v53, v53, v112
	v_lshrrev_b32_e32 v105, v74, v72
	v_lshrrev_b32_e32 v66, v57, v100
	v_lshlrev_b32_e32 v55, v55, v113
	s_wait_alu 0xfffd
	v_cndmask_b32_e64 v75, 0, 1, vcc_lo
	v_cmp_ne_u32_e32 vcc_lo, v80, v78
	v_lshlrev_b32_e32 v74, v74, v105
	v_lshrrev_b32_e32 v68, v62, v102
	v_lshlrev_b32_e32 v57, v57, v66
	v_med3_i32 v31, v31, 0, 13
	s_wait_alu 0xfffd
	v_cndmask_b32_e64 v77, 0, 1, vcc_lo
	v_cmp_ne_u32_e32 vcc_lo, v51, v94
	v_or_b32_e32 v106, 0x1000, v39
	v_cmp_ne_u32_e64 s0, v74, v72
	v_lshrrev_b32_e32 v72, v63, v104
	v_lshlrev_b32_e32 v62, v62, v68
	s_wait_alu 0xfffd
	v_cndmask_b32_e64 v51, 0, 1, vcc_lo
	v_cmp_ne_u32_e32 vcc_lo, v53, v96
	v_lshrrev_b32_e32 v74, v31, v106
	v_lshlrev_b32_e32 v63, v63, v72
	s_wait_alu 0xf1ff
	v_cndmask_b32_e64 v65, 0, 1, s1
	v_or_b32_e32 v78, v98, v84
	s_wait_alu 0xfffd
	v_cndmask_b32_e64 v53, 0, 1, vcc_lo
	v_cmp_ne_u32_e32 vcc_lo, v55, v99
	v_lshlrev_b32_e32 v31, v31, v74
	v_or_b32_e32 v65, v90, v65
	v_cndmask_b32_e64 v71, 0, 1, s0
	v_or_b32_e32 v69, v91, v69
	s_wait_alu 0xfffd
	v_cndmask_b32_e64 v55, 0, 1, vcc_lo
	v_cmp_ne_u32_e32 vcc_lo, v57, v100
	v_or_b32_e32 v75, v92, v75
	v_or_b32_e32 v71, v105, v71
	;; [unrolled: 1-line block ×4, first 2 shown]
	s_wait_alu 0xfffd
	v_cndmask_b32_e64 v57, 0, 1, vcc_lo
	v_cmp_ne_u32_e32 vcc_lo, v62, v102
	v_or_b32_e32 v53, v112, v53
	v_or_b32_e32 v55, v113, v55
	v_lshl_or_b32 v26, v26, 9, 0x7c00
	v_or_b32_e32 v57, v66, v57
	s_wait_alu 0xfffd
	v_cndmask_b32_e64 v62, 0, 1, vcc_lo
	v_cmp_ne_u32_e32 vcc_lo, v63, v104
	v_lshl_or_b32 v35, v35, 9, 0x7c00
	v_lshl_or_b32 v37, v37, 9, 0x7c00
	;; [unrolled: 1-line block ×3, first 2 shown]
	v_or_b32_e32 v62, v68, v62
	s_wait_alu 0xfffd
	v_cndmask_b32_e64 v63, 0, 1, vcc_lo
	v_cmp_ne_u32_e32 vcc_lo, v31, v106
	v_bfe_u32 v10, v11, 20, 11
	v_or_b32_e32 v82, 0x1000, v38
	v_lshl_or_b32 v30, v30, 9, 0x7c00
	v_or_b32_e32 v63, v72, v63
	s_wait_alu 0xfffd
	v_cndmask_b32_e64 v31, 0, 1, vcc_lo
	v_cmp_gt_i32_e32 vcc_lo, 1, v32
	v_sub_nc_u32_e32 v83, 0x3f1, v10
	v_lshl_or_b32 v33, v33, 9, 0x7c00
	v_lshl_or_b32 v36, v36, 9, 0x7c00
	v_or_b32_e32 v31, v74, v31
	s_wait_alu 0xfffd
	v_cndmask_b32_e32 v65, v81, v65, vcc_lo
	v_cmp_gt_i32_e32 vcc_lo, 1, v44
	v_med3_i32 v83, v83, 0, 13
	v_lshl_or_b32 v49, v49, 9, 0x7c00
	v_lshl_or_b32 v48, v48, 9, 0x7c00
	v_and_b32_e32 v72, 7, v65
	s_wait_alu 0xfffd
	v_cndmask_b32_e32 v78, v85, v78, vcc_lo
	v_cmp_gt_i32_e32 vcc_lo, 1, v58
	v_lshrrev_b32_e32 v65, 2, v65
	v_lshrrev_b32_e32 v110, v83, v82
	v_cmp_eq_u32_e64 s0, 3, v72
	s_wait_alu 0xfffd
	v_dual_cndmask_b32 v69, v86, v69 :: v_dual_and_b32 v74, 7, v78
	v_cmp_gt_i32_e32 vcc_lo, 1, v59
	v_lshrrev_b32_e32 v50, 16, v50
	v_lshrrev_b32_e32 v27, 16, v27
	s_delay_alu instid0(VALU_DEP_4)
	v_cmp_lt_i32_e64 s1, 5, v74
	v_cmp_eq_u32_e64 s2, 3, v74
	s_wait_alu 0xfffd
	v_cndmask_b32_e32 v66, v87, v71, vcc_lo
	v_cmp_gt_i32_e32 vcc_lo, 1, v60
	v_lshrrev_b32_e32 v29, 16, v29
	v_lshrrev_b32_e32 v52, 16, v52
	;; [unrolled: 1-line block ×3, first 2 shown]
	s_wait_dscnt 0x0
	v_lshrrev_b32_e32 v34, 16, v8
	s_wait_alu 0xfffd
	v_cndmask_b32_e32 v68, v88, v75, vcc_lo
	v_cmp_gt_i32_e32 vcc_lo, 1, v61
	v_lshrrev_b32_e32 v75, 2, v78
	v_and_b32_e32 v78, 7, v66
	v_lshrrev_b32_e32 v66, 2, v66
	s_wait_alu 0xfffd
	v_dual_cndmask_b32 v71, v89, v77 :: v_dual_and_b32 v80, 7, v68
	v_cmp_gt_i32_e32 vcc_lo, 1, v64
	v_and_b32_e32 v77, 7, v69
	v_lshrrev_b32_e32 v69, 2, v69
	v_cmp_lt_i32_e64 s5, 5, v78
	v_cmp_eq_u32_e64 s6, 3, v78
	s_wait_alu 0xfffd
	v_cndmask_b32_e32 v51, v95, v51, vcc_lo
	v_cmp_gt_i32_e32 vcc_lo, 1, v67
	v_cmp_lt_i32_e64 s3, 5, v77
	v_cmp_eq_u32_e64 s4, 3, v77
	v_and_b32_e32 v81, 7, v71
	v_cmp_lt_i32_e64 s7, 5, v80
	s_wait_alu 0xfffd
	v_cndmask_b32_e32 v53, v97, v53, vcc_lo
	v_cmp_gt_i32_e32 vcc_lo, 1, v70
	v_cmp_eq_u32_e64 s8, 3, v80
	v_and_b32_e32 v84, 7, v51
	v_lshrrev_b32_e32 v68, 2, v68
	v_cmp_lt_i32_e64 s9, 5, v81
	s_wait_alu 0xfffd
	v_cndmask_b32_e32 v55, v101, v55, vcc_lo
	v_cmp_gt_i32_e32 vcc_lo, 1, v73
	v_cmp_eq_u32_e64 s10, 3, v81
	v_lshrrev_b32_e32 v71, 2, v71
	v_cmp_lt_i32_e64 s11, 5, v84
	v_cmp_eq_u32_e64 s12, 3, v84
	s_wait_alu 0xfffd
	v_cndmask_b32_e32 v57, v103, v57, vcc_lo
	v_cmp_gt_i32_e32 vcc_lo, 1, v76
	v_lshrrev_b32_e32 v51, 2, v51
	v_and_b32_e32 v74, 7, v55
	v_lshrrev_b32_e32 v55, 2, v55
	s_wait_alu 0xfffd
	v_dual_cndmask_b32 v62, v107, v62 :: v_dual_and_b32 v77, 7, v57
	v_cmp_gt_i32_e32 vcc_lo, 1, v79
	v_cmp_lt_i32_e64 s15, 5, v74
	v_cmp_eq_u32_e64 s16, 3, v74
	s_delay_alu instid0(VALU_DEP_4)
	v_cmp_lt_i32_e64 s17, 5, v77
	v_cmp_eq_u32_e64 s18, 3, v77
	s_wait_alu 0xfffd
	v_cndmask_b32_e32 v63, v108, v63, vcc_lo
	v_cmp_gt_i32_e32 vcc_lo, 1, v12
	v_lshrrev_b32_e32 v57, 2, v57
	v_and_b32_e32 v78, 7, v62
	v_lshrrev_b32_e32 v62, 2, v62
	v_and_b32_e32 v80, 7, v63
	s_wait_alu 0xfffd
	v_cndmask_b32_e32 v31, v109, v31, vcc_lo
	v_cmp_lt_i32_e32 vcc_lo, 5, v72
	v_and_b32_e32 v72, 7, v53
	v_lshrrev_b32_e32 v53, 2, v53
	v_cmp_lt_i32_e64 s19, 5, v78
	v_cmp_eq_u32_e64 s20, 3, v78
	s_or_b32 vcc_lo, s0, vcc_lo
	v_cmp_lt_i32_e64 s13, 5, v72
	s_wait_alu 0xfffe
	v_add_co_ci_u32_e32 v65, vcc_lo, 0, v65, vcc_lo
	s_or_b32 vcc_lo, s2, s1
	v_cmp_eq_u32_e64 s14, 3, v72
	s_wait_alu 0xfffe
	v_add_co_ci_u32_e32 v72, vcc_lo, 0, v75, vcc_lo
	s_or_b32 vcc_lo, s4, s3
	v_cmp_lt_i32_e64 s21, 5, v80
	s_wait_alu 0xfffe
	v_add_co_ci_u32_e32 v69, vcc_lo, 0, v69, vcc_lo
	s_or_b32 vcc_lo, s6, s5
	v_cmp_eq_u32_e64 s22, 3, v80
	s_wait_alu 0xfffe
	v_add_co_ci_u32_e32 v66, vcc_lo, 0, v66, vcc_lo
	s_or_b32 vcc_lo, s8, s7
	v_lshrrev_b32_e32 v63, 2, v63
	s_wait_alu 0xfffe
	v_add_co_ci_u32_e32 v68, vcc_lo, 0, v68, vcc_lo
	s_or_b32 vcc_lo, s10, s9
	v_lshrrev_b32_e32 v56, 16, v56
	s_wait_alu 0xfffe
	v_add_co_ci_u32_e32 v71, vcc_lo, 0, v71, vcc_lo
	s_or_b32 vcc_lo, s12, s11
	v_and_or_b32 v6, 0x1ff, v7, v6
	s_wait_alu 0xfffe
	v_add_co_ci_u32_e32 v51, vcc_lo, 0, v51, vcc_lo
	v_cmp_gt_i32_e32 vcc_lo, 31, v32
	v_add_nc_u32_e32 v10, 0xfffffc10, v10
	v_cmp_ne_u32_e64 s1, 0, v6
	v_mul_f64_e32 v[14:15], s[26:27], v[14:15]
	v_lshrrev_b32_e32 v13, 16, v13
	s_wait_alu 0xfffd
	v_cndmask_b32_e32 v65, 0x7c00, v65, vcc_lo
	s_or_b32 vcc_lo, s14, s13
	v_cndmask_b32_e64 v6, 0, 1, s1
	s_wait_alu 0xfffe
	v_add_co_ci_u32_e32 v53, vcc_lo, 0, v53, vcc_lo
	v_cmp_gt_i32_e32 vcc_lo, 31, v44
	v_lshrrev_b32_e32 v11, 16, v11
	s_wait_alu 0xfffd
	v_cndmask_b32_e32 v72, 0x7c00, v72, vcc_lo
	s_or_b32 vcc_lo, s16, s15
	s_wait_alu 0xfffe
	v_add_co_ci_u32_e32 v55, vcc_lo, 0, v55, vcc_lo
	v_cmp_gt_i32_e32 vcc_lo, 31, v58
	s_wait_alu 0xfffd
	v_cndmask_b32_e32 v69, 0x7c00, v69, vcc_lo
	s_or_b32 vcc_lo, s18, s17
	s_wait_alu 0xfffe
	v_add_co_ci_u32_e32 v57, vcc_lo, 0, v57, vcc_lo
	v_cmp_gt_i32_e32 vcc_lo, 31, v59
	s_wait_alu 0xfffd
	v_cndmask_b32_e32 v66, 0x7c00, v66, vcc_lo
	s_or_b32 vcc_lo, s20, s19
	s_wait_alu 0xfffe
	v_add_co_ci_u32_e32 v62, vcc_lo, 0, v62, vcc_lo
	v_cmp_gt_i32_e32 vcc_lo, 31, v60
	v_lshlrev_b32_e32 v83, v83, v110
	v_and_or_b32 v14, 0x1ff, v15, v14
	s_wait_alu 0xfffd
	v_cndmask_b32_e32 v68, 0x7c00, v68, vcc_lo
	s_or_b32 vcc_lo, s22, s21
	v_cmp_ne_u32_e64 s0, v83, v82
	s_wait_alu 0xfffe
	v_add_co_ci_u32_e32 v63, vcc_lo, 0, v63, vcc_lo
	v_cmp_gt_i32_e32 vcc_lo, 31, v61
	s_wait_alu 0xfffd
	v_cndmask_b32_e32 v71, 0x7c00, v71, vcc_lo
	v_cmp_gt_i32_e32 vcc_lo, 31, v64
	s_wait_alu 0xfffd
	v_cndmask_b32_e32 v51, 0x7c00, v51, vcc_lo
	v_cmp_eq_u32_e32 vcc_lo, 0x40f, v32
	s_wait_alu 0xfffd
	v_cndmask_b32_e32 v30, v65, v30, vcc_lo
	v_cmp_gt_i32_e32 vcc_lo, 31, v67
	s_delay_alu instid0(VALU_DEP_2)
	v_and_or_b32 v20, 0x8000, v20, v30
	s_wait_alu 0xfffd
	v_cndmask_b32_e32 v32, 0x7c00, v53, vcc_lo
	v_cmp_eq_u32_e32 vcc_lo, 0x40f, v44
	s_wait_alu 0xfffd
	v_cndmask_b32_e32 v33, v72, v33, vcc_lo
	v_cmp_gt_i32_e32 vcc_lo, 31, v70
	s_delay_alu instid0(VALU_DEP_2)
	v_and_or_b32 v21, 0x8000, v21, v33
	s_wait_alu 0xfffd
	v_cndmask_b32_e32 v44, 0x7c00, v55, vcc_lo
	v_cmp_eq_u32_e32 vcc_lo, 0x40f, v58
	s_wait_alu 0xfffd
	v_cndmask_b32_e32 v47, v69, v47, vcc_lo
	v_cmp_gt_i32_e32 vcc_lo, 31, v73
	s_delay_alu instid0(VALU_DEP_2)
	v_and_or_b32 v22, 0x8000, v22, v47
	s_wait_alu 0xfffd
	v_cndmask_b32_e32 v53, 0x7c00, v57, vcc_lo
	v_cmp_eq_u32_e32 vcc_lo, 0x40f, v59
	s_wait_alu 0xfffd
	v_cndmask_b32_e32 v45, v66, v45, vcc_lo
	v_cmp_gt_i32_e32 vcc_lo, 31, v76
	v_cmp_eq_u32_e64 s1, 0x40f, v12
	s_delay_alu instid0(VALU_DEP_3)
	v_and_or_b32 v23, 0x8000, v23, v45
	s_wait_alu 0xfffd
	v_cndmask_b32_e32 v55, 0x7c00, v62, vcc_lo
	v_cmp_eq_u32_e32 vcc_lo, 0x40f, v60
	s_wait_alu 0xfffd
	v_cndmask_b32_e32 v36, v68, v36, vcc_lo
	v_cmp_gt_i32_e32 vcc_lo, 31, v79
	s_delay_alu instid0(VALU_DEP_2)
	v_and_or_b32 v24, 0x8000, v24, v36
	s_wait_alu 0xfffd
	v_cndmask_b32_e32 v57, 0x7c00, v63, vcc_lo
	v_cmp_eq_u32_e32 vcc_lo, 0x40f, v61
	s_wait_alu 0xfffd
	v_cndmask_b32_e32 v37, v71, v37, vcc_lo
	v_cmp_eq_u32_e32 vcc_lo, 0x40f, v64
	s_delay_alu instid0(VALU_DEP_2) | instskip(SKIP_3) | instid1(VALU_DEP_2)
	v_and_or_b32 v25, 0x8000, v25, v37
	s_wait_alu 0xfffd
	v_cndmask_b32_e32 v35, v51, v35, vcc_lo
	v_cmp_eq_u32_e32 vcc_lo, 0x40f, v67
	v_and_or_b32 v35, 0x8000, v50, v35
	s_wait_alu 0xfffd
	v_cndmask_b32_e32 v30, v32, v49, vcc_lo
	v_cmp_eq_u32_e32 vcc_lo, 0x40f, v70
	s_delay_alu instid0(VALU_DEP_2) | instskip(SKIP_3) | instid1(VALU_DEP_2)
	v_and_or_b32 v30, 0x8000, v52, v30
	s_wait_alu 0xfffd
	v_cndmask_b32_e32 v32, v44, v48, vcc_lo
	v_cmp_eq_u32_e32 vcc_lo, 0x40f, v73
	v_and_or_b32 v32, 0x8000, v54, v32
	;; [unrolled: 9-line block ×3, first 2 shown]
	s_wait_alu 0xfffd
	v_cndmask_b32_e32 v28, v57, v28, vcc_lo
	s_delay_alu instid0(VALU_DEP_2) | instskip(NEXT) | instid1(VALU_DEP_2)
	v_and_b32_e32 v26, 0xffff, v26
	v_and_or_b32 v27, 0x8000, v29, v28
	v_and_b32_e32 v28, 0xffff, v35
	v_and_b32_e32 v29, 0xffff, v30
	;; [unrolled: 1-line block ×4, first 2 shown]
	v_lshl_or_b32 v24, v24, 16, v26
	v_lshl_or_b32 v20, v20, 16, v28
	;; [unrolled: 1-line block ×5, first 2 shown]
	global_store_b32 v[2:3], v20, off
	v_mul_f16_e32 v2, v43, v34
	s_clause 0x1
	global_store_b32 v[0:1], v21, off
	global_store_b32 v[18:19], v22, off
	v_and_b32_e32 v1, 7, v31
	s_wait_alu 0xf1ff
	v_cndmask_b32_e64 v3, 0, 1, s0
	s_clause 0x1
	global_store_b32 v[16:17], v23, off
	global_store_b32 v[4:5], v24, off
	v_fmac_f16_e32 v2, v41, v8
	v_lshrrev_b32_e32 v16, 2, v31
	v_cmp_lt_i32_e32 vcc_lo, 5, v1
	v_cmp_eq_u32_e64 s0, 3, v1
	v_or_b32_e32 v3, v110, v3
	v_cvt_f32_f16_e32 v2, v2
	v_lshl_or_b32 v17, v10, 12, v38
	v_lshrrev_b32_e32 v18, 8, v7
	s_or_b32 vcc_lo, s0, vcc_lo
	v_bfe_u32 v19, v7, 20, 11
	v_cvt_f64_f32_e32 v[1:2], v2
	s_wait_alu 0xfffe
	v_add_co_ci_u32_e32 v16, vcc_lo, 0, v16, vcc_lo
	v_cmp_gt_i32_e32 vcc_lo, 1, v10
	v_and_or_b32 v6, 0xffe, v18, v6
	v_mul_f16_e32 v8, v43, v8
	v_and_b32_e32 v0, 0xffff, v27
	s_wait_alu 0xfffd
	v_cndmask_b32_e32 v3, v17, v3, vcc_lo
	v_cmp_ne_u32_e32 vcc_lo, 0, v39
	v_sub_nc_u32_e32 v17, 0x3f1, v19
	v_or_b32_e32 v21, 0x1000, v6
	v_fma_f16 v8, v41, v34, -v8
	v_and_b32_e32 v20, 7, v3
	s_wait_alu 0xfffd
	v_cndmask_b32_e64 v18, 0, 1, vcc_lo
	v_cmp_gt_i32_e32 vcc_lo, 31, v12
	v_med3_i32 v17, v17, 0, 13
	v_lshrrev_b32_e32 v3, 2, v3
	v_cmp_eq_u32_e64 s0, 3, v20
	v_lshl_or_b32 v18, v18, 9, 0x7c00
	s_wait_alu 0xfffd
	v_cndmask_b32_e32 v16, 0x7c00, v16, vcc_lo
	v_cmp_lt_i32_e32 vcc_lo, 5, v20
	v_lshrrev_b32_e32 v22, v17, v21
	v_cvt_f32_f16_e32 v8, v8
	v_lshl_or_b32 v0, v25, 16, v0
	v_cndmask_b32_e64 v12, v16, v18, s1
	s_or_b32 vcc_lo, s0, vcc_lo
	v_add_nc_u32_e32 v18, 0xfffffc10, v19
	s_wait_alu 0xfffe
	v_add_co_ci_u32_e32 v3, vcc_lo, 0, v3, vcc_lo
	v_lshlrev_b32_e32 v16, v17, v22
	v_cmp_ne_u32_e32 vcc_lo, 0, v38
	v_lshl_or_b32 v19, v18, 12, v6
	v_and_or_b32 v20, 0x8000, v13, v12
	v_cvt_f64_f32_e32 v[12:13], v8
	v_bfe_u32 v8, v15, 20, 11
	s_wait_alu 0xfffd
	v_cndmask_b32_e64 v17, 0, 1, vcc_lo
	v_cmp_ne_u32_e32 vcc_lo, v16, v21
	v_mul_f64_e32 v[1:2], s[26:27], v[1:2]
	v_lshrrev_b32_e32 v21, 16, v9
	v_and_b32_e32 v20, 0xffff, v20
	v_lshl_or_b32 v17, v17, 9, 0x7c00
	s_wait_alu 0xfffd
	v_cndmask_b32_e64 v16, 0, 1, vcc_lo
	v_cmp_gt_i32_e32 vcc_lo, 31, v10
	s_delay_alu instid0(VALU_DEP_2)
	v_or_b32_e32 v16, v22, v16
	s_wait_alu 0xfffd
	v_cndmask_b32_e32 v3, 0x7c00, v3, vcc_lo
	v_cmp_gt_i32_e32 vcc_lo, 1, v18
	s_wait_alu 0xfffd
	v_cndmask_b32_e32 v16, v19, v16, vcc_lo
	v_cmp_ne_u32_e32 vcc_lo, 0, v14
	v_lshrrev_b32_e32 v19, 8, v15
	v_lshrrev_b32_e32 v15, 16, v15
	s_wait_alu 0xfffd
	v_cndmask_b32_e64 v14, 0, 1, vcc_lo
	v_cmp_eq_u32_e32 vcc_lo, 0x40f, v10
	v_and_b32_e32 v10, 7, v16
	s_delay_alu instid0(VALU_DEP_3)
	v_and_or_b32 v14, 0xffe, v19, v14
	v_mul_f16_e32 v19, v42, v21
	s_wait_alu 0xfffd
	v_cndmask_b32_e32 v3, v3, v17, vcc_lo
	v_sub_nc_u32_e32 v17, 0x3f1, v8
	v_cmp_lt_i32_e32 vcc_lo, 5, v10
	v_cmp_eq_u32_e64 s0, 3, v10
	v_fmac_f16_e32 v19, v40, v9
	v_and_or_b32 v23, 0x8000, v11, v3
	v_lshrrev_b32_e32 v3, 2, v16
	v_or_b32_e32 v22, 0x1000, v14
	v_med3_i32 v17, v17, 0, 13
	v_cvt_f32_f16_e32 v10, v19
	s_or_b32 vcc_lo, s0, vcc_lo
	v_and_or_b32 v1, 0x1ff, v2, v1
	s_wait_alu 0xfffe
	v_add_co_ci_u32_e32 v3, vcc_lo, 0, v3, vcc_lo
	v_lshrrev_b32_e32 v16, v17, v22
	v_cvt_f64_f32_e32 v[10:11], v10
	v_cmp_ne_u32_e32 vcc_lo, 0, v6
	v_mul_f16_e32 v9, v42, v9
	v_lshrrev_b32_e32 v19, 8, v2
	v_lshlrev_b32_e32 v17, v17, v16
	v_lshl_or_b32 v20, v23, 16, v20
	s_wait_alu 0xfffd
	v_cndmask_b32_e64 v6, 0, 1, vcc_lo
	v_cmp_ne_u32_e32 vcc_lo, 0, v1
	v_fma_f16 v9, v40, v21, -v9
	v_bfe_u32 v21, v2, 20, 11
	v_lshrrev_b32_e32 v23, 16, v7
	v_lshl_or_b32 v6, v6, 9, 0x7c00
	s_wait_alu 0xfffd
	v_cndmask_b32_e64 v1, 0, 1, vcc_lo
	v_cmp_ne_u32_e32 vcc_lo, v17, v22
	v_add_nc_u32_e32 v22, 0xfffffc10, v8
	v_sub_nc_u32_e32 v24, 0x3f1, v21
	v_lshrrev_b32_e32 v2, 16, v2
	v_and_or_b32 v1, 0xffe, v19, v1
	s_wait_alu 0xfffd
	v_cndmask_b32_e64 v17, 0, 1, vcc_lo
	v_cvt_f32_f16_e32 v19, v9
	v_cmp_gt_i32_e32 vcc_lo, 31, v18
	v_mul_f64_e32 v[8:9], s[26:27], v[12:13]
	v_med3_i32 v24, v24, 0, 13
	v_or_b32_e32 v16, v16, v17
	v_lshl_or_b32 v17, v22, 12, v14
	v_cvt_f64_f32_e32 v[12:13], v19
	s_wait_alu 0xfffd
	v_cndmask_b32_e32 v25, 0x7c00, v3, vcc_lo
	v_cmp_gt_i32_e32 vcc_lo, 1, v22
	v_or_b32_e32 v19, 0x1000, v1
	s_wait_alu 0xfffd
	v_cndmask_b32_e32 v16, v17, v16, vcc_lo
	v_add_co_u32 v3, vcc_lo, v4, s24
	s_wait_alu 0xfffd
	v_add_co_ci_u32_e32 v4, vcc_lo, s25, v5, vcc_lo
	s_delay_alu instid0(VALU_DEP_3)
	v_and_b32_e32 v5, 7, v16
	v_cmp_eq_u32_e32 vcc_lo, 0x40f, v18
	v_lshrrev_b32_e32 v26, v24, v19
	v_lshrrev_b32_e32 v7, 2, v16
	v_add_nc_u32_e32 v16, 0xfffffc10, v21
	v_cmp_eq_u32_e64 s0, 3, v5
	s_wait_alu 0xfffd
	v_cndmask_b32_e32 v18, v25, v6, vcc_lo
	v_cmp_lt_i32_e32 vcc_lo, 5, v5
	v_lshlrev_b32_e32 v17, v24, v26
	v_mul_f64_e32 v[5:6], s[26:27], v[10:11]
	s_delay_alu instid0(VALU_DEP_4) | instskip(SKIP_1) | instid1(VALU_DEP_3)
	v_and_or_b32 v18, 0x8000, v23, v18
	s_or_b32 vcc_lo, s0, vcc_lo
	v_cmp_ne_u32_e64 s1, v17, v19
	s_wait_alu 0xfffe
	v_add_co_ci_u32_e32 v7, vcc_lo, 0, v7, vcc_lo
	v_cmp_ne_u32_e32 vcc_lo, 0, v14
	v_lshl_or_b32 v17, v16, 12, v1
	s_wait_alu 0xf1ff
	v_cndmask_b32_e64 v10, 0, 1, s1
	v_and_b32_e32 v18, 0xffff, v18
	s_wait_alu 0xfffd
	v_cndmask_b32_e64 v11, 0, 1, vcc_lo
	v_cmp_gt_i32_e32 vcc_lo, 31, v22
	v_or_b32_e32 v14, v26, v10
	v_and_or_b32 v21, 0x1ff, v9, v8
	s_delay_alu instid0(VALU_DEP_4)
	v_lshl_or_b32 v24, v11, 9, 0x7c00
	s_wait_alu 0xfffd
	v_cndmask_b32_e32 v19, 0x7c00, v7, vcc_lo
	v_add_co_u32 v10, vcc_lo, v3, s24
	s_wait_alu 0xfffd
	v_add_co_ci_u32_e32 v11, vcc_lo, s25, v4, vcc_lo
	v_cmp_gt_i32_e32 vcc_lo, 1, v16
	v_mul_f64_e32 v[7:8], s[26:27], v[12:13]
	s_wait_alu 0xfffd
	v_cndmask_b32_e32 v12, v17, v14, vcc_lo
	v_cmp_ne_u32_e32 vcc_lo, 0, v21
	v_lshrrev_b32_e32 v14, 8, v9
	v_bfe_u32 v17, v9, 20, 11
	v_lshrrev_b32_e32 v9, 16, v9
	v_and_b32_e32 v21, 7, v12
	s_wait_alu 0xfffd
	v_cndmask_b32_e64 v13, 0, 1, vcc_lo
	v_cmp_eq_u32_e32 vcc_lo, 0x40f, v22
	v_lshrrev_b32_e32 v12, 2, v12
	v_cmp_eq_u32_e64 s0, 3, v21
	s_delay_alu instid0(VALU_DEP_4)
	v_and_or_b32 v13, 0xffe, v14, v13
	s_wait_alu 0xfffd
	v_cndmask_b32_e32 v19, v19, v24, vcc_lo
	v_sub_nc_u32_e32 v14, 0x3f1, v17
	v_cmp_lt_i32_e32 vcc_lo, 5, v21
	v_and_or_b32 v5, 0x1ff, v6, v5
	v_lshrrev_b32_e32 v22, 8, v6
	v_and_or_b32 v15, 0x8000, v15, v19
	v_or_b32_e32 v19, 0x1000, v13
	v_med3_i32 v14, v14, 0, 13
	s_or_b32 vcc_lo, s0, vcc_lo
	v_bfe_u32 v23, v6, 20, 11
	s_wait_alu 0xfffe
	v_add_co_ci_u32_e32 v12, vcc_lo, 0, v12, vcc_lo
	v_lshrrev_b32_e32 v21, v14, v19
	v_cmp_ne_u32_e32 vcc_lo, 0, v5
	v_add_nc_u32_e32 v17, 0xfffffc10, v17
	v_lshrrev_b32_e32 v6, 16, v6
	s_delay_alu instid0(VALU_DEP_4) | instskip(SKIP_4) | instid1(VALU_DEP_3)
	v_lshlrev_b32_e32 v14, v14, v21
	s_wait_alu 0xfffd
	v_cndmask_b32_e64 v5, 0, 1, vcc_lo
	v_cmp_ne_u32_e32 vcc_lo, 0, v1
	v_and_or_b32 v7, 0x1ff, v8, v7
	v_and_or_b32 v5, 0xffe, v22, v5
	s_wait_alu 0xfffd
	v_cndmask_b32_e64 v1, 0, 1, vcc_lo
	v_cmp_ne_u32_e32 vcc_lo, v14, v19
	v_sub_nc_u32_e32 v22, 0x3f1, v23
	v_lshrrev_b32_e32 v24, 8, v8
	v_or_b32_e32 v19, 0x1000, v5
	v_bfe_u32 v25, v8, 20, 11
	s_wait_alu 0xfffd
	v_cndmask_b32_e64 v14, 0, 1, vcc_lo
	v_cmp_gt_i32_e32 vcc_lo, 31, v16
	v_med3_i32 v22, v22, 0, 13
	v_lshl_or_b32 v1, v1, 9, 0x7c00
	s_delay_alu instid0(VALU_DEP_4)
	v_or_b32_e32 v14, v21, v14
	s_wait_alu 0xfffd
	v_cndmask_b32_e32 v12, 0x7c00, v12, vcc_lo
	v_cmp_ne_u32_e32 vcc_lo, 0, v7
	v_lshl_or_b32 v21, v17, 12, v13
	v_lshrrev_b32_e32 v26, v22, v19
	s_wait_alu 0xfffd
	v_cndmask_b32_e64 v7, 0, 1, vcc_lo
	v_cmp_gt_i32_e32 vcc_lo, 1, v17
	s_delay_alu instid0(VALU_DEP_2)
	v_and_or_b32 v7, 0xffe, v24, v7
	v_sub_nc_u32_e32 v24, 0x3f1, v25
	s_wait_alu 0xfffd
	v_cndmask_b32_e32 v14, v21, v14, vcc_lo
	v_lshlrev_b32_e32 v21, v22, v26
	v_cmp_eq_u32_e32 vcc_lo, 0x40f, v16
	v_or_b32_e32 v22, 0x1000, v7
	v_med3_i32 v24, v24, 0, 13
	v_add_nc_u32_e32 v16, 0xfffffc10, v23
	v_and_b32_e32 v27, 7, v14
	s_wait_alu 0xfffd
	v_cndmask_b32_e32 v1, v12, v1, vcc_lo
	v_cmp_ne_u32_e32 vcc_lo, v21, v19
	v_lshrrev_b32_e32 v19, v24, v22
	v_lshl_or_b32 v21, v16, 12, v5
	v_cmp_gt_i32_e64 s1, 1, v16
	v_cmp_eq_u32_e64 s0, 3, v27
	s_wait_alu 0xfffd
	v_cndmask_b32_e64 v12, 0, 1, vcc_lo
	v_lshlrev_b32_e32 v23, v24, v19
	v_cmp_lt_i32_e32 vcc_lo, 5, v27
	v_lshrrev_b32_e32 v14, 2, v14
	v_and_or_b32 v1, 0x8000, v2, v1
	v_or_b32_e32 v12, v26, v12
	s_or_b32 vcc_lo, s0, vcc_lo
	s_wait_alu 0xfffe
	v_add_co_ci_u32_e32 v14, vcc_lo, 0, v14, vcc_lo
	s_delay_alu instid0(VALU_DEP_2) | instskip(SKIP_3) | instid1(VALU_DEP_4)
	v_cndmask_b32_e64 v12, v21, v12, s1
	v_cmp_ne_u32_e64 s1, v23, v22
	v_add_nc_u32_e32 v22, 0xfffffc10, v25
	v_cmp_ne_u32_e32 vcc_lo, 0, v13
	v_and_b32_e32 v23, 7, v12
	s_wait_alu 0xf1ff
	v_cndmask_b32_e64 v21, 0, 1, s1
	v_cmp_gt_i32_e64 s0, 1, v22
	s_wait_alu 0xfffd
	v_cndmask_b32_e64 v13, 0, 1, vcc_lo
	v_lshrrev_b32_e32 v12, 2, v12
	v_cmp_lt_i32_e32 vcc_lo, 5, v23
	v_or_b32_e32 v19, v19, v21
	v_lshl_or_b32 v21, v22, 12, v7
	v_cmp_gt_i32_e64 s1, 31, v17
	v_lshl_or_b32 v13, v13, 9, 0x7c00
	s_wait_alu 0xf1ff
	s_delay_alu instid0(VALU_DEP_3) | instskip(SKIP_3) | instid1(VALU_DEP_4)
	v_cndmask_b32_e64 v2, v21, v19, s0
	v_cmp_eq_u32_e64 s0, 3, v23
	v_cndmask_b32_e64 v14, 0x7c00, v14, s1
	v_cmp_eq_u32_e64 s1, 0x40f, v17
	v_and_b32_e32 v19, 7, v2
	s_delay_alu instid0(VALU_DEP_4)
	s_or_b32 vcc_lo, s0, vcc_lo
	v_lshrrev_b32_e32 v2, 2, v2
	s_wait_alu 0xfffe
	v_add_co_ci_u32_e32 v12, vcc_lo, 0, v12, vcc_lo
	v_cmp_ne_u32_e32 vcc_lo, 0, v5
	v_cmp_eq_u32_e64 s0, 3, v19
	v_cndmask_b32_e64 v13, v14, v13, s1
	v_cmp_gt_i32_e64 s1, 31, v16
	s_wait_alu 0xfffd
	v_cndmask_b32_e64 v5, 0, 1, vcc_lo
	v_cmp_lt_i32_e32 vcc_lo, 5, v19
	v_and_or_b32 v9, 0x8000, v9, v13
	s_wait_alu 0xf1ff
	v_cndmask_b32_e64 v12, 0x7c00, v12, s1
	v_and_b32_e32 v13, 0xffff, v1
	v_lshl_or_b32 v5, v5, 9, 0x7c00
	s_or_b32 vcc_lo, s0, vcc_lo
	s_wait_alu 0xfffe
	v_add_co_ci_u32_e32 v2, vcc_lo, 0, v2, vcc_lo
	v_cmp_ne_u32_e32 vcc_lo, 0, v7
	v_lshl_or_b32 v9, v9, 16, v13
	s_wait_alu 0xfffd
	v_cndmask_b32_e64 v7, 0, 1, vcc_lo
	v_cmp_eq_u32_e32 vcc_lo, 0x40f, v16
	s_delay_alu instid0(VALU_DEP_2) | instskip(SKIP_4) | instid1(VALU_DEP_3)
	v_lshl_or_b32 v7, v7, 9, 0x7c00
	s_wait_alu 0xfffd
	v_cndmask_b32_e32 v5, v12, v5, vcc_lo
	v_cmp_gt_i32_e32 vcc_lo, 31, v22
	v_lshl_or_b32 v12, v15, 16, v18
	v_and_or_b32 v5, 0x8000, v6, v5
	s_wait_alu 0xfffd
	v_cndmask_b32_e32 v2, 0x7c00, v2, vcc_lo
	v_cmp_eq_u32_e32 vcc_lo, 0x40f, v22
	s_wait_alu 0xfffd
	s_delay_alu instid0(VALU_DEP_2) | instskip(SKIP_4) | instid1(VALU_DEP_3)
	v_cndmask_b32_e32 v6, v2, v7, vcc_lo
	v_lshrrev_b32_e32 v7, 16, v8
	v_add_co_u32 v1, vcc_lo, v10, s24
	s_wait_alu 0xfffd
	v_add_co_ci_u32_e32 v2, vcc_lo, s25, v11, vcc_lo
	v_and_or_b32 v7, 0x8000, v7, v6
	v_and_b32_e32 v8, 0xffff, v5
	v_add_co_u32 v5, vcc_lo, v1, s24
	s_wait_alu 0xfffd
	v_add_co_ci_u32_e32 v6, vcc_lo, s25, v2, vcc_lo
	s_delay_alu instid0(VALU_DEP_3) | instskip(NEXT) | instid1(VALU_DEP_3)
	v_lshl_or_b32 v13, v7, 16, v8
	v_add_co_u32 v7, vcc_lo, v5, s24
	s_wait_alu 0xfffd
	s_delay_alu instid0(VALU_DEP_3)
	v_add_co_ci_u32_e32 v8, vcc_lo, s25, v6, vcc_lo
	global_store_b32 v[3:4], v0, off
	global_store_b32 v[10:11], v20, off
	;; [unrolled: 1-line block ×5, first 2 shown]
.LBB0_2:
	s_nop 0
	s_sendmsg sendmsg(MSG_DEALLOC_VGPRS)
	s_endpgm
	.section	.rodata,"a",@progbits
	.p2align	6, 0x0
	.amdhsa_kernel bluestein_single_back_len1000_dim1_half_op_CI_CI
		.amdhsa_group_segment_fixed_size 4000
		.amdhsa_private_segment_fixed_size 0
		.amdhsa_kernarg_size 104
		.amdhsa_user_sgpr_count 2
		.amdhsa_user_sgpr_dispatch_ptr 0
		.amdhsa_user_sgpr_queue_ptr 0
		.amdhsa_user_sgpr_kernarg_segment_ptr 1
		.amdhsa_user_sgpr_dispatch_id 0
		.amdhsa_user_sgpr_private_segment_size 0
		.amdhsa_wavefront_size32 1
		.amdhsa_uses_dynamic_stack 0
		.amdhsa_enable_private_segment 0
		.amdhsa_system_sgpr_workgroup_id_x 1
		.amdhsa_system_sgpr_workgroup_id_y 0
		.amdhsa_system_sgpr_workgroup_id_z 0
		.amdhsa_system_sgpr_workgroup_info 0
		.amdhsa_system_vgpr_workitem_id 0
		.amdhsa_next_free_vgpr 114
		.amdhsa_next_free_sgpr 28
		.amdhsa_reserve_vcc 1
		.amdhsa_float_round_mode_32 0
		.amdhsa_float_round_mode_16_64 0
		.amdhsa_float_denorm_mode_32 3
		.amdhsa_float_denorm_mode_16_64 3
		.amdhsa_fp16_overflow 0
		.amdhsa_workgroup_processor_mode 1
		.amdhsa_memory_ordered 1
		.amdhsa_forward_progress 0
		.amdhsa_round_robin_scheduling 0
		.amdhsa_exception_fp_ieee_invalid_op 0
		.amdhsa_exception_fp_denorm_src 0
		.amdhsa_exception_fp_ieee_div_zero 0
		.amdhsa_exception_fp_ieee_overflow 0
		.amdhsa_exception_fp_ieee_underflow 0
		.amdhsa_exception_fp_ieee_inexact 0
		.amdhsa_exception_int_div_zero 0
	.end_amdhsa_kernel
	.text
.Lfunc_end0:
	.size	bluestein_single_back_len1000_dim1_half_op_CI_CI, .Lfunc_end0-bluestein_single_back_len1000_dim1_half_op_CI_CI
                                        ; -- End function
	.section	.AMDGPU.csdata,"",@progbits
; Kernel info:
; codeLenInByte = 15708
; NumSgprs: 30
; NumVgprs: 114
; ScratchSize: 0
; MemoryBound: 0
; FloatMode: 240
; IeeeMode: 1
; LDSByteSize: 4000 bytes/workgroup (compile time only)
; SGPRBlocks: 3
; VGPRBlocks: 14
; NumSGPRsForWavesPerEU: 30
; NumVGPRsForWavesPerEU: 114
; Occupancy: 12
; WaveLimiterHint : 1
; COMPUTE_PGM_RSRC2:SCRATCH_EN: 0
; COMPUTE_PGM_RSRC2:USER_SGPR: 2
; COMPUTE_PGM_RSRC2:TRAP_HANDLER: 0
; COMPUTE_PGM_RSRC2:TGID_X_EN: 1
; COMPUTE_PGM_RSRC2:TGID_Y_EN: 0
; COMPUTE_PGM_RSRC2:TGID_Z_EN: 0
; COMPUTE_PGM_RSRC2:TIDIG_COMP_CNT: 0
	.text
	.p2alignl 7, 3214868480
	.fill 96, 4, 3214868480
	.type	__hip_cuid_ca33216426201642,@object ; @__hip_cuid_ca33216426201642
	.section	.bss,"aw",@nobits
	.globl	__hip_cuid_ca33216426201642
__hip_cuid_ca33216426201642:
	.byte	0                               ; 0x0
	.size	__hip_cuid_ca33216426201642, 1

	.ident	"AMD clang version 19.0.0git (https://github.com/RadeonOpenCompute/llvm-project roc-6.4.0 25133 c7fe45cf4b819c5991fe208aaa96edf142730f1d)"
	.section	".note.GNU-stack","",@progbits
	.addrsig
	.addrsig_sym __hip_cuid_ca33216426201642
	.amdgpu_metadata
---
amdhsa.kernels:
  - .args:
      - .actual_access:  read_only
        .address_space:  global
        .offset:         0
        .size:           8
        .value_kind:     global_buffer
      - .actual_access:  read_only
        .address_space:  global
        .offset:         8
        .size:           8
        .value_kind:     global_buffer
      - .actual_access:  read_only
        .address_space:  global
        .offset:         16
        .size:           8
        .value_kind:     global_buffer
      - .actual_access:  read_only
        .address_space:  global
        .offset:         24
        .size:           8
        .value_kind:     global_buffer
      - .actual_access:  read_only
        .address_space:  global
        .offset:         32
        .size:           8
        .value_kind:     global_buffer
      - .offset:         40
        .size:           8
        .value_kind:     by_value
      - .address_space:  global
        .offset:         48
        .size:           8
        .value_kind:     global_buffer
      - .address_space:  global
        .offset:         56
        .size:           8
        .value_kind:     global_buffer
      - .address_space:  global
        .offset:         64
        .size:           8
        .value_kind:     global_buffer
      - .address_space:  global
        .offset:         72
        .size:           8
        .value_kind:     global_buffer
      - .offset:         80
        .size:           4
        .value_kind:     by_value
      - .address_space:  global
        .offset:         88
        .size:           8
        .value_kind:     global_buffer
      - .address_space:  global
        .offset:         96
        .size:           8
        .value_kind:     global_buffer
    .group_segment_fixed_size: 4000
    .kernarg_segment_align: 8
    .kernarg_segment_size: 104
    .language:       OpenCL C
    .language_version:
      - 2
      - 0
    .max_flat_workgroup_size: 100
    .name:           bluestein_single_back_len1000_dim1_half_op_CI_CI
    .private_segment_fixed_size: 0
    .sgpr_count:     30
    .sgpr_spill_count: 0
    .symbol:         bluestein_single_back_len1000_dim1_half_op_CI_CI.kd
    .uniform_work_group_size: 1
    .uses_dynamic_stack: false
    .vgpr_count:     114
    .vgpr_spill_count: 0
    .wavefront_size: 32
    .workgroup_processor_mode: 1
amdhsa.target:   amdgcn-amd-amdhsa--gfx1201
amdhsa.version:
  - 1
  - 2
...

	.end_amdgpu_metadata
